;; amdgpu-corpus repo=ROCm/rocFFT kind=compiled arch=gfx1201 opt=O3
	.text
	.amdgcn_target "amdgcn-amd-amdhsa--gfx1201"
	.amdhsa_code_object_version 6
	.protected	bluestein_single_fwd_len1760_dim1_dp_op_CI_CI ; -- Begin function bluestein_single_fwd_len1760_dim1_dp_op_CI_CI
	.globl	bluestein_single_fwd_len1760_dim1_dp_op_CI_CI
	.p2align	8
	.type	bluestein_single_fwd_len1760_dim1_dp_op_CI_CI,@function
bluestein_single_fwd_len1760_dim1_dp_op_CI_CI: ; @bluestein_single_fwd_len1760_dim1_dp_op_CI_CI
; %bb.0:
	s_load_b128 s[16:19], s[0:1], 0x28
	v_mul_u32_u24_e32 v1, 0x175, v0
	s_mov_b32 s2, exec_lo
	v_mov_b32_e32 v8, 0
	s_delay_alu instid0(VALU_DEP_2) | instskip(NEXT) | instid1(VALU_DEP_1)
	v_lshrrev_b32_e32 v1, 16, v1
	v_add_nc_u32_e32 v7, ttmp9, v1
	s_wait_kmcnt 0x0
	s_delay_alu instid0(VALU_DEP_1)
	v_cmpx_gt_u64_e64 s[16:17], v[7:8]
	s_cbranch_execz .LBB0_10
; %bb.1:
	s_clause 0x1
	s_load_b128 s[4:7], s[0:1], 0x18
	s_load_b128 s[8:11], s[0:1], 0x0
	v_mul_lo_u16 v1, 0xb0, v1
	s_load_b64 s[0:1], s[0:1], 0x38
                                        ; implicit-def: $vgpr136_vgpr137
	s_delay_alu instid0(VALU_DEP_1) | instskip(NEXT) | instid1(VALU_DEP_1)
	v_sub_nc_u16 v44, v0, v1
	v_and_b32_e32 v16, 0xffff, v44
	s_wait_kmcnt 0x0
	s_load_b128 s[12:15], s[4:5], 0x0
	s_movk_i32 s4, 0xd400
	s_mov_b32 s5, -1
	s_wait_kmcnt 0x0
	v_mad_co_u64_u32 v[12:13], null, s12, v16, 0
	v_mad_co_u64_u32 v[0:1], null, s14, v7, 0
	s_mul_u64 s[2:3], s[12:13], 0x3700
	s_mul_u64 s[4:5], s[12:13], s[4:5]
	s_delay_alu instid0(VALU_DEP_2) | instskip(NEXT) | instid1(VALU_DEP_1)
	v_mov_b32_e32 v2, v13
	v_mad_co_u64_u32 v[3:4], null, s15, v7, v[1:2]
	s_delay_alu instid0(VALU_DEP_1) | instskip(SKIP_3) | instid1(VALU_DEP_4)
	v_mov_b32_e32 v1, v3
	v_mad_co_u64_u32 v[4:5], null, s13, v16, v[2:3]
	v_lshlrev_b32_e32 v208, 4, v16
	v_lshlrev_b32_e32 v207, 5, v16
	v_lshlrev_b64_e32 v[14:15], 4, v[0:1]
	s_clause 0x2
	global_load_b128 v[209:212], v208, s[8:9] offset:14080
	global_load_b128 v[213:216], v208, s[8:9]
	global_load_b128 v[217:220], v208, s[8:9] offset:2816
	v_mov_b32_e32 v13, v4
	s_clause 0x1
	global_load_b128 v[221:224], v208, s[8:9] offset:16896
	global_load_b128 v[225:228], v208, s[8:9] offset:19712
	v_add_co_u32 v0, vcc_lo, s18, v14
	v_add_co_ci_u32_e32 v1, vcc_lo, s19, v15, vcc_lo
	v_lshlrev_b64_e32 v[20:21], 4, v[12:13]
	s_clause 0x2
	global_load_b128 v[229:232], v208, s[8:9] offset:5632
	global_load_b128 v[245:248], v208, s[8:9] offset:8448
	;; [unrolled: 1-line block ×3, first 2 shown]
	v_add_co_u32 v32, vcc_lo, v0, v20
	s_wait_alu 0xfffd
	v_add_co_ci_u32_e32 v33, vcc_lo, v1, v21, vcc_lo
	s_delay_alu instid0(VALU_DEP_2) | instskip(SKIP_1) | instid1(VALU_DEP_2)
	v_add_co_u32 v34, vcc_lo, v32, s2
	s_wait_alu 0xfffd
	v_add_co_ci_u32_e32 v35, vcc_lo, s3, v33, vcc_lo
	s_clause 0x1
	global_load_b128 v[40:43], v[32:33], off
	global_load_b128 v[45:48], v[34:35], off
	v_add_co_u32 v36, vcc_lo, v34, s4
	s_wait_alu 0xfffd
	v_add_co_ci_u32_e32 v37, vcc_lo, s5, v35, vcc_lo
	s_delay_alu instid0(VALU_DEP_2) | instskip(SKIP_1) | instid1(VALU_DEP_2)
	v_add_co_u32 v38, vcc_lo, v36, s2
	s_wait_alu 0xfffd
	v_add_co_ci_u32_e32 v39, vcc_lo, s3, v37, vcc_lo
	s_clause 0x1
	global_load_b128 v[49:52], v[36:37], off
	global_load_b128 v[53:56], v[38:39], off
	v_add_co_u32 v57, vcc_lo, v38, s4
	s_wait_alu 0xfffd
	v_add_co_ci_u32_e32 v58, vcc_lo, s5, v39, vcc_lo
	s_delay_alu instid0(VALU_DEP_2) | instskip(SKIP_1) | instid1(VALU_DEP_2)
	v_add_co_u32 v32, vcc_lo, v57, s2
	s_wait_alu 0xfffd
	v_add_co_ci_u32_e32 v33, vcc_lo, s3, v58, vcc_lo
	global_load_b128 v[57:60], v[57:58], off
	v_add_co_u32 v34, vcc_lo, v32, s4
	s_wait_alu 0xfffd
	v_add_co_ci_u32_e32 v35, vcc_lo, s5, v33, vcc_lo
	global_load_b128 v[61:64], v[32:33], off
	;; [unrolled: 4-line block ×3, first 2 shown]
	v_add_co_u32 v38, vcc_lo, v36, s4
	s_wait_alu 0xfffd
	v_add_co_ci_u32_e32 v39, vcc_lo, s5, v37, vcc_lo
	s_delay_alu instid0(VALU_DEP_2) | instskip(SKIP_1) | instid1(VALU_DEP_2)
	v_add_co_u32 v77, vcc_lo, v38, s2
	s_wait_alu 0xfffd
	v_add_co_ci_u32_e32 v78, vcc_lo, s3, v39, vcc_lo
	global_load_b128 v[69:72], v[36:37], off
	global_load_b128 v[0:3], v208, s[8:9] offset:11264
	global_load_b128 v[73:76], v[38:39], off
	global_load_b128 v[8:11], v208, s[8:9] offset:25344
	global_load_b128 v[77:80], v[77:78], off
	s_load_b128 s[4:7], s[6:7], 0x0
	v_add_co_u32 v39, null, 0xb0, v16
	v_cmp_gt_u16_e32 vcc_lo, 0xa0, v44
	v_add_co_u32 v140, s2, s8, v208
	s_delay_alu instid0(VALU_DEP_3)
	v_lshlrev_b32_e32 v31, 5, v39
	s_wait_alu 0xf1ff
	v_add_co_ci_u32_e64 v141, null, s9, 0, s2
	s_wait_loadcnt 0xb
	v_mul_f64_e32 v[81:82], v[42:43], v[215:216]
	v_mul_f64_e32 v[83:84], v[40:41], v[215:216]
	s_wait_loadcnt 0xa
	v_mul_f64_e32 v[85:86], v[47:48], v[211:212]
	v_mul_f64_e32 v[87:88], v[45:46], v[211:212]
	;; [unrolled: 3-line block ×7, first 2 shown]
	v_fma_f64 v[40:41], v[40:41], v[213:214], v[81:82]
	s_wait_loadcnt 0x4
	v_mul_f64_e32 v[109:110], v[71:72], v[251:252]
	v_mul_f64_e32 v[111:112], v[69:70], v[251:252]
	s_wait_loadcnt 0x2
	v_mul_f64_e32 v[113:114], v[75:76], v[2:3]
	v_mul_f64_e32 v[115:116], v[73:74], v[2:3]
	;; [unrolled: 3-line block ×3, first 2 shown]
	v_fma_f64 v[42:43], v[42:43], v[213:214], -v[83:84]
	v_fma_f64 v[45:46], v[45:46], v[209:210], v[85:86]
	v_fma_f64 v[47:48], v[47:48], v[209:210], -v[87:88]
	s_clause 0x1
	scratch_store_b128 off, v[0:3], off
	scratch_store_b128 off, v[8:11], off offset:16
	v_fma_f64 v[49:50], v[49:50], v[217:218], v[89:90]
	v_fma_f64 v[51:52], v[51:52], v[217:218], -v[91:92]
	v_fma_f64 v[53:54], v[53:54], v[221:222], v[93:94]
	v_fma_f64 v[55:56], v[55:56], v[221:222], -v[95:96]
	;; [unrolled: 2-line block ×8, first 2 shown]
	v_and_b32_e32 v0, 1, v16
	ds_store_b128 v208, v[40:43]
	ds_store_b128 v208, v[49:52] offset:2816
	ds_store_b128 v208, v[53:56] offset:16896
	;; [unrolled: 1-line block ×9, first 2 shown]
	global_wb scope:SCOPE_SE
	s_wait_storecnt_dscnt 0x0
	s_wait_kmcnt 0x0
	s_barrier_signal -1
	s_barrier_wait -1
	global_inv scope:SCOPE_SE
	ds_load_b128 v[40:43], v208 offset:14080
	ds_load_b128 v[45:48], v208
	ds_load_b128 v[49:52], v208 offset:2816
	ds_load_b128 v[53:56], v208 offset:16896
	;; [unrolled: 1-line block ×8, first 2 shown]
	v_lshlrev_b32_e32 v2, 4, v0
	global_wb scope:SCOPE_SE
	s_wait_dscnt 0x0
	s_barrier_signal -1
	s_barrier_wait -1
	global_inv scope:SCOPE_SE
	v_add_f64_e64 v[40:41], v[45:46], -v[40:41]
	v_add_f64_e64 v[42:43], v[47:48], -v[42:43]
	;; [unrolled: 1-line block ×10, first 2 shown]
	v_fma_f64 v[85:86], v[45:46], 2.0, -v[40:41]
	v_fma_f64 v[87:88], v[47:48], 2.0, -v[42:43]
	;; [unrolled: 1-line block ×10, first 2 shown]
	v_lshlrev_b32_e32 v45, 1, v16
	s_delay_alu instid0(VALU_DEP_1) | instskip(SKIP_3) | instid1(VALU_DEP_4)
	v_add_nc_u32_e32 v46, 0x2c0, v45
	v_add_nc_u32_e32 v47, 0x420, v45
	;; [unrolled: 1-line block ×3, first 2 shown]
	v_lshlrev_b32_e32 v1, 4, v45
	v_lshlrev_b32_e32 v28, 4, v46
	s_delay_alu instid0(VALU_DEP_4) | instskip(NEXT) | instid1(VALU_DEP_4)
	v_lshlrev_b32_e32 v24, 4, v47
	v_lshlrev_b32_e32 v20, 4, v60
	ds_store_b128 v207, v[85:88]
	ds_store_b128 v207, v[40:43] offset:16
	ds_store_b128 v31, v[48:51]
	ds_store_b128 v31, v[53:56] offset:16
	ds_store_b128 v1, v[61:64] offset:11264
	;; [unrolled: 1-line block ×7, first 2 shown]
	global_wb scope:SCOPE_SE
	s_wait_dscnt 0x0
	s_barrier_signal -1
	s_barrier_wait -1
	global_inv scope:SCOPE_SE
	global_load_b128 v[56:59], v2, s[10:11]
	ds_load_b128 v[40:43], v208 offset:14080
	ds_load_b128 v[48:51], v208 offset:16896
	;; [unrolled: 1-line block ×6, first 2 shown]
	v_and_b32_e32 v1, 3, v16
	v_and_or_b32 v2, 0x1fc, v45, v0
	s_delay_alu instid0(VALU_DEP_2) | instskip(NEXT) | instid1(VALU_DEP_2)
	v_lshlrev_b32_e32 v3, 4, v1
	v_lshlrev_b32_e32 v32, 4, v2
	v_and_or_b32 v2, 0x1f8, v45, v1
	s_delay_alu instid0(VALU_DEP_1)
	v_lshlrev_b32_e32 v30, 4, v2
	s_wait_loadcnt_dscnt 0x5
	v_mul_f64_e32 v[73:74], v[42:43], v[58:59]
	v_mul_f64_e32 v[75:76], v[40:41], v[58:59]
	s_wait_dscnt 0x4
	v_mul_f64_e32 v[77:78], v[50:51], v[58:59]
	v_mul_f64_e32 v[79:80], v[48:49], v[58:59]
	s_wait_dscnt 0x3
	;; [unrolled: 3-line block ×4, first 2 shown]
	v_mul_f64_e32 v[89:90], v[67:68], v[58:59]
	v_mul_f64_e32 v[91:92], v[65:66], v[58:59]
	v_fma_f64 v[73:74], v[40:41], v[56:57], -v[73:74]
	v_fma_f64 v[75:76], v[42:43], v[56:57], v[75:76]
	v_fma_f64 v[77:78], v[48:49], v[56:57], -v[77:78]
	v_fma_f64 v[79:80], v[50:51], v[56:57], v[79:80]
	;; [unrolled: 2-line block ×5, first 2 shown]
	ds_load_b128 v[40:43], v208
	ds_load_b128 v[48:51], v208 offset:2816
	ds_load_b128 v[52:55], v208 offset:5632
	;; [unrolled: 1-line block ×3, first 2 shown]
	global_wb scope:SCOPE_SE
	s_wait_dscnt 0x0
	s_barrier_signal -1
	s_barrier_wait -1
	global_inv scope:SCOPE_SE
	v_add_f64_e64 v[65:66], v[40:41], -v[73:74]
	v_add_f64_e64 v[67:68], v[42:43], -v[75:76]
	;; [unrolled: 1-line block ×10, first 2 shown]
	v_fma_f64 v[40:41], v[40:41], 2.0, -v[65:66]
	v_fma_f64 v[42:43], v[42:43], 2.0, -v[67:68]
	;; [unrolled: 1-line block ×10, first 2 shown]
	v_lshlrev_b32_e32 v61, 1, v39
	v_and_or_b32 v63, 0x7fc, v46, v0
	v_and_or_b32 v64, 0x7fc, v47, v0
	s_delay_alu instid0(VALU_DEP_3) | instskip(SKIP_1) | instid1(VALU_DEP_4)
	v_and_or_b32 v62, 0x3fc, v61, v0
	v_and_or_b32 v0, 0x7fc, v60, v0
	v_lshlrev_b32_e32 v25, 4, v63
	s_delay_alu instid0(VALU_DEP_4) | instskip(NEXT) | instid1(VALU_DEP_4)
	v_lshlrev_b32_e32 v21, 4, v64
	v_lshlrev_b32_e32 v29, 4, v62
	s_delay_alu instid0(VALU_DEP_4)
	v_lshlrev_b32_e32 v17, 4, v0
	ds_store_b128 v32, v[40:43]
	ds_store_b128 v32, v[65:68] offset:32
	ds_store_b128 v29, v[48:51]
	ds_store_b128 v29, v[73:76] offset:32
	;; [unrolled: 2-line block ×5, first 2 shown]
	global_wb scope:SCOPE_SE
	s_wait_dscnt 0x0
	s_barrier_signal -1
	s_barrier_wait -1
	global_inv scope:SCOPE_SE
	global_load_b128 v[52:55], v3, s[10:11] offset:32
	ds_load_b128 v[40:43], v208 offset:14080
	ds_load_b128 v[48:51], v208 offset:16896
	;; [unrolled: 1-line block ×6, first 2 shown]
	v_and_b32_e32 v0, 7, v16
	s_delay_alu instid0(VALU_DEP_1) | instskip(SKIP_1) | instid1(VALU_DEP_1)
	v_lshlrev_b32_e32 v3, 4, v0
	v_and_or_b32 v2, 0x1f0, v45, v0
	v_lshlrev_b32_e32 v27, 4, v2
	s_wait_loadcnt_dscnt 0x5
	v_mul_f64_e32 v[78:79], v[42:43], v[54:55]
	v_mul_f64_e32 v[80:81], v[40:41], v[54:55]
	s_wait_dscnt 0x4
	v_mul_f64_e32 v[82:83], v[50:51], v[54:55]
	v_mul_f64_e32 v[84:85], v[48:49], v[54:55]
	s_wait_dscnt 0x3
	;; [unrolled: 3-line block ×4, first 2 shown]
	v_mul_f64_e32 v[94:95], v[72:73], v[54:55]
	v_mul_f64_e32 v[96:97], v[70:71], v[54:55]
	v_fma_f64 v[78:79], v[40:41], v[52:53], -v[78:79]
	v_fma_f64 v[80:81], v[42:43], v[52:53], v[80:81]
	v_fma_f64 v[82:83], v[48:49], v[52:53], -v[82:83]
	v_fma_f64 v[84:85], v[50:51], v[52:53], v[84:85]
	;; [unrolled: 2-line block ×5, first 2 shown]
	ds_load_b128 v[40:43], v208
	ds_load_b128 v[48:51], v208 offset:2816
	ds_load_b128 v[62:65], v208 offset:5632
	;; [unrolled: 1-line block ×3, first 2 shown]
	global_wb scope:SCOPE_SE
	s_wait_dscnt 0x0
	s_barrier_signal -1
	s_barrier_wait -1
	global_inv scope:SCOPE_SE
	v_add_f64_e64 v[70:71], v[40:41], -v[78:79]
	v_add_f64_e64 v[72:73], v[42:43], -v[80:81]
	;; [unrolled: 1-line block ×10, first 2 shown]
	v_and_or_b32 v94, 0x3f8, v61, v1
	v_and_or_b32 v95, 0x7f8, v46, v1
	;; [unrolled: 1-line block ×4, first 2 shown]
	s_delay_alu instid0(VALU_DEP_4) | instskip(NEXT) | instid1(VALU_DEP_4)
	v_lshlrev_b32_e32 v26, 4, v94
	v_lshlrev_b32_e32 v22, 4, v95
	s_delay_alu instid0(VALU_DEP_4) | instskip(NEXT) | instid1(VALU_DEP_4)
	v_lshlrev_b32_e32 v18, 4, v96
	v_lshlrev_b32_e32 v236, 4, v1
	v_and_b32_e32 v1, 15, v16
	s_delay_alu instid0(VALU_DEP_1) | instskip(SKIP_1) | instid1(VALU_DEP_2)
	v_and_or_b32 v2, 0x3e0, v61, v1
	v_and_or_b32 v44, 0x7e0, v47, v1
	v_lshlrev_b32_e32 v255, 4, v2
	s_delay_alu instid0(VALU_DEP_2)
	v_lshlrev_b32_e32 v235, 4, v44
	v_fma_f64 v[40:41], v[40:41], 2.0, -v[70:71]
	v_fma_f64 v[42:43], v[42:43], 2.0, -v[72:73]
	;; [unrolled: 1-line block ×10, first 2 shown]
	ds_store_b128 v30, v[40:43]
	ds_store_b128 v30, v[70:73] offset:64
	ds_store_b128 v26, v[48:51]
	ds_store_b128 v26, v[78:81] offset:64
	;; [unrolled: 2-line block ×5, first 2 shown]
	global_wb scope:SCOPE_SE
	s_wait_dscnt 0x0
	s_barrier_signal -1
	s_barrier_wait -1
	global_inv scope:SCOPE_SE
	global_load_b128 v[48:51], v3, s[10:11] offset:96
	ds_load_b128 v[40:43], v208 offset:14080
	ds_load_b128 v[62:65], v208 offset:16896
	ds_load_b128 v[66:69], v208 offset:19712
	ds_load_b128 v[70:73], v208 offset:22528
	ds_load_b128 v[74:77], v208 offset:25344
	ds_load_b128 v[78:81], v208 offset:11264
	v_lshlrev_b32_e32 v3, 4, v1
	s_wait_loadcnt_dscnt 0x5
	v_mul_f64_e32 v[82:83], v[42:43], v[50:51]
	v_mul_f64_e32 v[84:85], v[40:41], v[50:51]
	s_wait_dscnt 0x4
	v_mul_f64_e32 v[86:87], v[64:65], v[50:51]
	v_mul_f64_e32 v[88:89], v[62:63], v[50:51]
	s_wait_dscnt 0x3
	;; [unrolled: 3-line block ×4, first 2 shown]
	v_mul_f64_e32 v[98:99], v[76:77], v[50:51]
	v_mul_f64_e32 v[100:101], v[74:75], v[50:51]
	v_fma_f64 v[82:83], v[40:41], v[48:49], -v[82:83]
	v_fma_f64 v[84:85], v[42:43], v[48:49], v[84:85]
	v_fma_f64 v[86:87], v[62:63], v[48:49], -v[86:87]
	v_fma_f64 v[88:89], v[64:65], v[48:49], v[88:89]
	;; [unrolled: 2-line block ×5, first 2 shown]
	ds_load_b128 v[40:43], v208
	ds_load_b128 v[62:65], v208 offset:2816
	ds_load_b128 v[66:69], v208 offset:5632
	;; [unrolled: 1-line block ×3, first 2 shown]
	global_wb scope:SCOPE_SE
	s_wait_dscnt 0x0
	s_barrier_signal -1
	s_barrier_wait -1
	global_inv scope:SCOPE_SE
	v_add_f64_e64 v[74:75], v[40:41], -v[82:83]
	v_add_f64_e64 v[76:77], v[42:43], -v[84:85]
	;; [unrolled: 1-line block ×10, first 2 shown]
	v_and_or_b32 v98, 0x3f0, v61, v0
	v_and_or_b32 v99, 0x7f0, v46, v0
	;; [unrolled: 1-line block ×4, first 2 shown]
	s_delay_alu instid0(VALU_DEP_4) | instskip(NEXT) | instid1(VALU_DEP_4)
	v_lshlrev_b32_e32 v23, 4, v98
	v_lshlrev_b32_e32 v19, 4, v99
	s_delay_alu instid0(VALU_DEP_4) | instskip(NEXT) | instid1(VALU_DEP_4)
	v_lshlrev_b32_e32 v233, 4, v100
	v_lshlrev_b32_e32 v156, 4, v0
	v_and_or_b32 v0, 0x1e0, v45, v1
	v_fma_f64 v[40:41], v[40:41], 2.0, -v[74:75]
	v_fma_f64 v[42:43], v[42:43], 2.0, -v[76:77]
	;; [unrolled: 1-line block ×10, first 2 shown]
	ds_store_b128 v27, v[40:43]
	ds_store_b128 v27, v[74:77] offset:128
	ds_store_b128 v23, v[62:65]
	ds_store_b128 v23, v[82:85] offset:128
	;; [unrolled: 2-line block ×5, first 2 shown]
	global_wb scope:SCOPE_SE
	s_wait_dscnt 0x0
	s_barrier_signal -1
	s_barrier_wait -1
	global_inv scope:SCOPE_SE
	global_load_b128 v[40:43], v3, s[10:11] offset:224
	ds_load_b128 v[62:65], v208 offset:14080
	ds_load_b128 v[66:69], v208 offset:16896
	;; [unrolled: 1-line block ×6, first 2 shown]
	v_and_or_b32 v3, 0x7e0, v46, v1
	v_and_or_b32 v1, 0x7e0, v60, v1
	s_delay_alu instid0(VALU_DEP_2) | instskip(NEXT) | instid1(VALU_DEP_2)
	v_lshlrev_b32_e32 v10, 4, v3
	v_lshlrev_b32_e32 v6, 4, v1
	s_wait_loadcnt_dscnt 0x5
	v_mul_f64_e32 v[86:87], v[64:65], v[42:43]
	v_mul_f64_e32 v[88:89], v[62:63], v[42:43]
	s_wait_dscnt 0x4
	v_mul_f64_e32 v[90:91], v[68:69], v[42:43]
	v_mul_f64_e32 v[92:93], v[66:67], v[42:43]
	s_wait_dscnt 0x3
	;; [unrolled: 3-line block ×4, first 2 shown]
	v_mul_f64_e32 v[102:103], v[80:81], v[42:43]
	v_mul_f64_e32 v[104:105], v[78:79], v[42:43]
	v_fma_f64 v[86:87], v[62:63], v[40:41], -v[86:87]
	v_fma_f64 v[88:89], v[64:65], v[40:41], v[88:89]
	v_fma_f64 v[90:91], v[66:67], v[40:41], -v[90:91]
	v_fma_f64 v[92:93], v[68:69], v[40:41], v[92:93]
	v_fma_f64 v[94:95], v[70:71], v[40:41], -v[94:95]
	v_fma_f64 v[96:97], v[72:73], v[40:41], v[96:97]
	v_fma_f64 v[98:99], v[74:75], v[40:41], -v[98:99]
	v_fma_f64 v[112:113], v[76:77], v[40:41], v[100:101]
	v_fma_f64 v[78:79], v[78:79], v[40:41], -v[102:103]
	v_fma_f64 v[80:81], v[80:81], v[40:41], v[104:105]
	ds_load_b128 v[62:65], v208
	ds_load_b128 v[66:69], v208 offset:2816
	ds_load_b128 v[70:73], v208 offset:5632
	;; [unrolled: 1-line block ×3, first 2 shown]
	global_wb scope:SCOPE_SE
	s_wait_dscnt 0x0
	s_barrier_signal -1
	s_barrier_wait -1
	global_inv scope:SCOPE_SE
	v_add_f64_e64 v[104:105], v[62:63], -v[86:87]
	v_add_f64_e64 v[106:107], v[64:65], -v[88:89]
	;; [unrolled: 1-line block ×10, first 2 shown]
	v_fma_f64 v[96:97], v[62:63], 2.0, -v[104:105]
	v_fma_f64 v[98:99], v[64:65], 2.0, -v[106:107]
	;; [unrolled: 1-line block ×10, first 2 shown]
	v_lshlrev_b32_e32 v63, 4, v0
	ds_store_b128 v63, v[96:99]
	ds_store_b128 v63, v[104:107] offset:256
	ds_store_b128 v255, v[124:127]
	ds_store_b128 v255, v[108:111] offset:256
	;; [unrolled: 2-line block ×5, first 2 shown]
	global_wb scope:SCOPE_SE
	s_wait_dscnt 0x0
	s_barrier_signal -1
	s_barrier_wait -1
	global_inv scope:SCOPE_SE
	s_and_saveexec_b32 s2, vcc_lo
	s_cbranch_execz .LBB0_3
; %bb.2:
	ds_load_b128 v[96:99], v208
	ds_load_b128 v[104:107], v208 offset:2560
	ds_load_b128 v[124:127], v208 offset:5120
	;; [unrolled: 1-line block ×10, first 2 shown]
.LBB0_3:
	s_wait_alu 0xfffe
	s_or_b32 exec_lo, exec_lo, s2
	v_and_b32_e32 v4, 31, v16
	s_mov_b32 s2, 0xf8bb580b
	s_mov_b32 s3, 0xbfe14ced
	;; [unrolled: 1-line block ×4, first 2 shown]
	v_mad_co_u64_u32 v[88:89], null, 0xa0, v4, s[10:11]
	s_mov_b32 s13, 0x3feaeb8c
	s_mov_b32 s15, 0xbfed1bb4
	;; [unrolled: 1-line block ×6, first 2 shown]
	s_clause 0x9
	global_load_b128 v[44:47], v[88:89], off offset:480
	global_load_b128 v[12:15], v[88:89], off offset:624
	;; [unrolled: 1-line block ×10, first 2 shown]
	s_mov_b32 s20, 0x640f44db
	s_mov_b32 s26, 0xbb3a28a1
	;; [unrolled: 1-line block ×10, first 2 shown]
	v_lshrrev_b32_e32 v5, 5, v16
	global_wb scope:SCOPE_SE
	s_wait_loadcnt_dscnt 0x0
	s_barrier_signal -1
	s_barrier_wait -1
	global_inv scope:SCOPE_SE
	v_mul_f64_e32 v[142:143], v[106:107], v[46:47]
	v_mul_f64_e32 v[144:145], v[104:105], v[46:47]
	;; [unrolled: 1-line block ×10, first 2 shown]
	v_fma_f64 v[191:192], v[104:105], v[44:45], -v[142:143]
	v_fma_f64 v[193:194], v[106:107], v[44:45], v[144:145]
	v_fma_f64 v[106:107], v[138:139], v[12:13], v[146:147]
	v_fma_f64 v[104:105], v[136:137], v[12:13], -v[148:149]
	v_mul_f64_e32 v[142:143], v[110:111], v[78:79]
	v_mul_f64_e32 v[144:145], v[108:109], v[78:79]
	;; [unrolled: 1-line block ×4, first 2 shown]
	v_fma_f64 v[136:137], v[124:125], v[64:65], -v[150:151]
	v_fma_f64 v[138:139], v[126:127], v[64:65], v[152:153]
	v_fma_f64 v[126:127], v[134:135], v[68:69], v[157:158]
	v_fma_f64 v[124:125], v[132:133], v[68:69], -v[154:155]
	v_mul_f64_e32 v[150:151], v[118:119], v[86:87]
	v_mul_f64_e32 v[152:153], v[116:117], v[86:87]
	;; [unrolled: 1-line block ×4, first 2 shown]
	v_add_f64_e64 v[195:196], v[193:194], -v[106:107]
	v_add_f64_e64 v[199:200], v[191:192], -v[104:105]
	v_fma_f64 v[132:133], v[108:109], v[76:77], -v[142:143]
	v_fma_f64 v[134:135], v[110:111], v[76:77], v[144:145]
	v_fma_f64 v[108:109], v[128:129], v[72:73], -v[146:147]
	v_fma_f64 v[110:111], v[130:131], v[72:73], v[148:149]
	v_add_f64_e32 v[197:198], v[191:192], v[104:105]
	v_add_f64_e32 v[201:202], v[193:194], v[106:107]
	v_add_f64_e64 v[159:160], v[138:139], -v[126:127]
	v_add_f64_e64 v[148:149], v[136:137], -v[124:125]
	v_mul_f64_e32 v[128:129], v[102:103], v[94:95]
	v_mul_f64_e32 v[130:131], v[100:101], v[94:95]
	v_fma_f64 v[142:143], v[116:117], v[84:85], -v[150:151]
	v_fma_f64 v[144:145], v[118:119], v[84:85], v[152:153]
	v_fma_f64 v[116:117], v[120:121], v[80:81], -v[154:155]
	v_fma_f64 v[118:119], v[122:123], v[80:81], v[157:158]
	v_add_f64_e32 v[122:123], v[136:137], v[124:125]
	v_add_f64_e32 v[146:147], v[138:139], v[126:127]
	s_wait_alu 0xfffe
	v_mul_f64_e32 v[203:204], s[2:3], v[195:196]
	v_mul_f64_e32 v[205:206], s[2:3], v[199:200]
	v_add_f64_e64 v[157:158], v[132:133], -v[108:109]
	v_add_f64_e64 v[171:172], v[134:135], -v[110:111]
	v_add_f64_e32 v[154:155], v[134:135], v[110:111]
	v_mul_f64_e32 v[0:1], s[14:15], v[159:160]
	v_mul_f64_e32 v[173:174], s[14:15], v[148:149]
	v_fma_f64 v[100:101], v[100:101], v[92:93], -v[128:129]
	v_fma_f64 v[120:121], v[102:103], v[92:93], v[130:131]
	v_fma_f64 v[102:103], v[112:113], v[88:89], -v[161:162]
	v_fma_f64 v[112:113], v[114:115], v[88:89], v[163:164]
	v_add_f64_e32 v[114:115], v[132:133], v[108:109]
	v_add_f64_e64 v[169:170], v[142:143], -v[116:117]
	v_add_f64_e64 v[185:186], v[144:145], -v[118:119]
	v_fma_f64 v[165:166], v[197:198], s[12:13], v[203:204]
	v_fma_f64 v[167:168], v[201:202], s[12:13], -v[205:206]
	v_mul_f64_e32 v[150:151], s[18:19], v[157:158]
	v_mul_f64_e32 v[175:176], s[18:19], v[171:172]
	v_fma_f64 v[128:129], v[122:123], s[16:17], v[0:1]
	v_fma_f64 v[130:131], v[146:147], s[16:17], -v[173:174]
	v_add_f64_e64 v[187:188], v[100:101], -v[102:103]
	v_add_f64_e64 v[189:190], v[120:121], -v[112:113]
	v_mul_f64_e32 v[161:162], s[26:27], v[169:170]
	v_mul_f64_e32 v[183:184], s[26:27], v[185:186]
	v_add_f64_e32 v[177:178], v[96:97], v[165:166]
	v_add_f64_e32 v[179:180], v[98:99], v[167:168]
	;; [unrolled: 1-line block ×4, first 2 shown]
	v_fma_f64 v[239:240], v[154:155], s[20:21], -v[150:151]
	v_fma_f64 v[237:238], v[114:115], s[20:21], v[175:176]
	v_mul_f64_e32 v[163:164], s[28:29], v[187:188]
	v_mul_f64_e32 v[61:62], s[28:29], v[189:190]
	v_add_f64_e32 v[128:129], v[128:129], v[177:178]
	v_add_f64_e32 v[130:131], v[130:131], v[179:180]
	;; [unrolled: 1-line block ×4, first 2 shown]
	v_fma_f64 v[241:242], v[165:166], s[22:23], v[183:184]
	v_fma_f64 v[243:244], v[167:168], s[22:23], -v[161:162]
	v_add_f64_e32 v[128:129], v[237:238], v[128:129]
	v_add_f64_e32 v[130:131], v[239:240], v[130:131]
	v_fma_f64 v[237:238], v[177:178], s[24:25], v[61:62]
	v_fma_f64 v[239:240], v[179:180], s[24:25], -v[163:164]
	s_delay_alu instid0(VALU_DEP_4) | instskip(NEXT) | instid1(VALU_DEP_4)
	v_add_f64_e32 v[128:129], v[241:242], v[128:129]
	v_add_f64_e32 v[130:131], v[243:244], v[130:131]
	s_delay_alu instid0(VALU_DEP_2) | instskip(NEXT) | instid1(VALU_DEP_2)
	v_add_f64_e32 v[33:34], v[237:238], v[128:129]
	v_add_f64_e32 v[35:36], v[239:240], v[130:131]
	s_and_saveexec_b32 s33, vcc_lo
	s_cbranch_execz .LBB0_5
; %bb.4:
	s_clause 0x3
	scratch_store_b32 off, v28, off offset:36
	scratch_store_b32 off, v29, off offset:40
	;; [unrolled: 1-line block ×4, first 2 shown]
	v_dual_mov_b32 v28, v245 :: v_dual_mov_b32 v29, v246
	s_clause 0x1
	scratch_store_b32 off, v32, off offset:52
	scratch_store_b128 off, v[33:36], off offset:56
	v_dual_mov_b32 v32, v249 :: v_dual_mov_b32 v33, v250
	v_mul_f64_e32 v[237:238], s[24:25], v[201:202]
	v_mul_f64_e32 v[241:242], s[22:23], v[201:202]
	v_dual_mov_b32 v30, v247 :: v_dual_mov_b32 v31, v248
	v_mul_f64_e32 v[245:246], s[20:21], v[201:202]
	v_dual_mov_b32 v34, v251 :: v_dual_mov_b32 v35, v252
	v_mul_f64_e32 v[249:250], s[16:17], v[201:202]
	v_mul_f64_e32 v[201:202], s[12:13], v[201:202]
	s_mov_b32 s39, 0x3fefac9e
	s_mov_b32 s38, s18
	;; [unrolled: 1-line block ×8, first 2 shown]
	v_mul_f64_e32 v[253:254], s[18:19], v[195:196]
	s_clause 0x2
	scratch_store_b32 off, v4, off offset:32
	scratch_store_b32 off, v5, off offset:44
	scratch_store_b32 off, v6, off offset:48
	v_mov_b32_e32 v36, v7
	v_dual_mov_b32 v4, v209 :: v_dual_mov_b32 v7, v212
	scratch_store_b64 off, v[163:164], off offset:100 ; 8-byte Folded Spill
	v_mov_b32_e32 v164, v10
	v_dual_mov_b32 v8, v213 :: v_dual_mov_b32 v181, v233
	v_add_f64_e32 v[128:129], v[98:99], v[193:194]
	v_dual_mov_b32 v5, v210 :: v_dual_mov_b32 v6, v211
	v_dual_mov_b32 v9, v214 :: v_dual_mov_b32 v10, v215
	v_mov_b32_e32 v11, v216
	s_clause 0x1
	scratch_store_b64 off, v[128:129], off offset:84
	scratch_store_b32 off, v236, off offset:76
	v_fma_f64 v[239:240], v[199:200], s[36:37], v[237:238]
	v_fma_f64 v[237:238], v[199:200], s[28:29], v[237:238]
	;; [unrolled: 1-line block ×8, first 2 shown]
	v_add_f64_e32 v[201:202], v[205:206], v[201:202]
	v_mul_f64_e32 v[205:206], s[28:29], v[195:196]
	v_mul_f64_e32 v[249:250], s[26:27], v[195:196]
	;; [unrolled: 1-line block ×3, first 2 shown]
	v_fma_f64 v[213:214], v[197:198], s[20:21], -v[253:254]
	v_fma_f64 v[253:254], v[197:198], s[20:21], v[253:254]
	v_add_f64_e32 v[128:129], v[96:97], v[191:192]
	v_mov_b32_e32 v236, v16
	scratch_store_b64 off, v[61:62], off offset:108 ; 8-byte Folded Spill
	v_dual_mov_b32 v62, v17 :: v_dual_mov_b32 v153, v20
	v_mov_b32_e32 v182, v18
	v_mov_b32_e32 v152, v19
	v_dual_mov_b32 v16, v221 :: v_dual_mov_b32 v17, v222
	v_dual_mov_b32 v18, v223 :: v_dual_mov_b32 v19, v224
	s_mov_b32 s41, 0x3fe14ced
	s_mov_b32 s40, s2
	v_dual_mov_b32 v60, v161 :: v_dual_mov_b32 v61, v162
	v_dual_mov_b32 v161, v21 :: v_dual_mov_b32 v162, v22
	v_dual_mov_b32 v131, v26 :: v_dual_mov_b32 v130, v25
	v_mov_b32_e32 v163, v27
	v_mul_f64_e32 v[26:27], s[40:41], v[189:190]
	v_mul_f64_e32 v[233:234], s[12:13], v[167:168]
	v_dual_mov_b32 v38, v1 :: v_dual_mov_b32 v37, v0
	v_add_f64_e32 v[191:192], v[98:99], v[239:240]
	v_mul_f64_e32 v[0:1], s[22:23], v[179:180]
	v_add_f64_e32 v[245:246], v[98:99], v[245:246]
	v_fma_f64 v[209:210], v[197:198], s[24:25], v[205:206]
	v_fma_f64 v[205:206], v[197:198], s[24:25], -v[205:206]
	v_fma_f64 v[211:212], v[197:198], s[22:23], v[249:250]
	v_fma_f64 v[249:250], v[197:198], s[22:23], -v[249:250]
	v_fma_f64 v[215:216], v[197:198], s[16:17], -v[195:196]
	v_fma_f64 v[195:196], v[197:198], s[16:17], v[195:196]
	v_mul_f64_e32 v[197:198], s[12:13], v[197:198]
	scratch_store_b64 off, v[128:129], off offset:92 ; 8-byte Folded Spill
	v_add_f64_e32 v[213:214], v[96:97], v[213:214]
	v_mov_b32_e32 v128, v23
	v_dual_mov_b32 v20, v225 :: v_dual_mov_b32 v21, v226
	v_dual_mov_b32 v22, v227 :: v_dual_mov_b32 v23, v228
	v_mul_f64_e32 v[225:226], s[20:21], v[179:180]
	v_mul_f64_e32 v[227:228], s[18:19], v[189:190]
	v_mov_b32_e32 v129, v24
	v_mul_f64_e32 v[24:25], s[12:13], v[179:180]
	v_fma_f64 v[2:3], v[187:188], s[26:27], v[0:1]
	v_fma_f64 v[0:1], v[187:188], s[30:31], v[0:1]
	v_add_f64_e32 v[193:194], v[96:97], v[209:210]
	v_add_f64_e32 v[209:210], v[98:99], v[243:244]
	;; [unrolled: 1-line block ×6, first 2 shown]
	v_add_f64_e64 v[197:198], v[197:198], -v[203:204]
	v_mul_f64_e32 v[195:196], s[12:13], v[146:147]
	v_add_f64_e32 v[203:204], v[98:99], v[237:238]
	v_add_f64_e32 v[237:238], v[98:99], v[241:242]
	;; [unrolled: 1-line block ×9, first 2 shown]
	v_fma_f64 v[96:97], v[148:149], s[2:3], v[195:196]
	v_fma_f64 v[195:196], v[148:149], s[40:41], v[195:196]
	s_delay_alu instid0(VALU_DEP_2) | instskip(SKIP_1) | instid1(VALU_DEP_3)
	v_add_f64_e32 v[96:97], v[96:97], v[191:192]
	v_mul_f64_e32 v[191:192], s[40:41], v[159:160]
	v_add_f64_e32 v[195:196], v[195:196], v[203:204]
	v_mul_f64_e32 v[203:204], s[12:13], v[154:155]
	s_delay_alu instid0(VALU_DEP_3) | instskip(SKIP_1) | instid1(VALU_DEP_2)
	v_fma_f64 v[98:99], v[122:123], s[12:13], v[191:192]
	v_fma_f64 v[191:192], v[122:123], s[12:13], -v[191:192]
	v_add_f64_e32 v[98:99], v[98:99], v[193:194]
	v_mul_f64_e32 v[193:194], s[22:23], v[154:155]
	s_delay_alu instid0(VALU_DEP_3) | instskip(SKIP_2) | instid1(VALU_DEP_4)
	v_add_f64_e32 v[191:192], v[191:192], v[205:206]
	v_fma_f64 v[205:206], v[157:158], s[40:41], v[203:204]
	v_fma_f64 v[203:204], v[157:158], s[2:3], v[203:204]
	;; [unrolled: 1-line block ×4, first 2 shown]
	s_delay_alu instid0(VALU_DEP_2) | instskip(SKIP_1) | instid1(VALU_DEP_3)
	v_add_f64_e32 v[96:97], v[197:198], v[96:97]
	v_mul_f64_e32 v[197:198], s[26:27], v[171:172]
	v_add_f64_e32 v[193:194], v[193:194], v[195:196]
	s_delay_alu instid0(VALU_DEP_2) | instskip(SKIP_2) | instid1(VALU_DEP_3)
	v_fma_f64 v[199:200], v[114:115], s[22:23], v[197:198]
	v_fma_f64 v[195:196], v[114:115], s[22:23], -v[197:198]
	v_fma_f64 v[197:198], v[177:178], s[20:21], -v[227:228]
	v_add_f64_e32 v[98:99], v[199:200], v[98:99]
	v_mul_f64_e32 v[199:200], s[16:17], v[167:168]
	s_delay_alu instid0(VALU_DEP_4) | instskip(NEXT) | instid1(VALU_DEP_2)
	v_add_f64_e32 v[191:192], v[195:196], v[191:192]
	v_fma_f64 v[201:202], v[169:170], s[14:15], v[199:200]
	v_fma_f64 v[195:196], v[169:170], s[34:35], v[199:200]
	v_mul_f64_e32 v[199:200], s[20:21], v[146:147]
	s_delay_alu instid0(VALU_DEP_3) | instskip(SKIP_1) | instid1(VALU_DEP_4)
	v_add_f64_e32 v[96:97], v[201:202], v[96:97]
	v_mul_f64_e32 v[201:202], s[34:35], v[185:186]
	v_add_f64_e32 v[193:194], v[195:196], v[193:194]
	s_delay_alu instid0(VALU_DEP_2) | instskip(SKIP_2) | instid1(VALU_DEP_3)
	v_fma_f64 v[195:196], v[165:166], s[16:17], -v[201:202]
	v_fma_f64 v[223:224], v[165:166], s[16:17], v[201:202]
	v_mul_f64_e32 v[201:202], s[38:39], v[159:160]
	v_add_f64_e32 v[191:192], v[195:196], v[191:192]
	v_fma_f64 v[195:196], v[187:188], s[18:19], v[225:226]
	s_delay_alu instid0(VALU_DEP_4)
	v_add_f64_e32 v[223:224], v[223:224], v[98:99]
	v_fma_f64 v[98:99], v[187:188], s[38:39], v[225:226]
	v_mul_f64_e32 v[225:226], s[16:17], v[179:180]
	v_add_f64_e32 v[191:192], v[197:198], v[191:192]
	v_add_f64_e32 v[193:194], v[195:196], v[193:194]
	v_fma_f64 v[195:196], v[148:149], s[18:19], v[199:200]
	v_fma_f64 v[197:198], v[122:123], s[20:21], v[201:202]
	;; [unrolled: 1-line block ×3, first 2 shown]
	v_fma_f64 v[201:202], v[122:123], s[20:21], -v[201:202]
	v_add_f64_e32 v[98:99], v[98:99], v[96:97]
	v_fma_f64 v[96:97], v[177:178], s[20:21], v[227:228]
	v_mul_f64_e32 v[227:228], s[34:35], v[189:190]
	v_mul_f64_e32 v[189:190], s[26:27], v[189:190]
	v_add_f64_e32 v[195:196], v[195:196], v[209:210]
	v_add_f64_e32 v[197:198], v[197:198], v[211:212]
	;; [unrolled: 1-line block ×6, first 2 shown]
	v_mul_f64_e32 v[205:206], s[2:3], v[171:172]
	v_add_f64_e32 v[199:200], v[203:204], v[199:200]
	s_delay_alu instid0(VALU_DEP_2) | instskip(SKIP_2) | instid1(VALU_DEP_3)
	v_fma_f64 v[209:210], v[114:115], s[12:13], v[205:206]
	v_fma_f64 v[203:204], v[114:115], s[12:13], -v[205:206]
	v_fma_f64 v[205:206], v[177:178], s[16:17], -v[227:228]
	v_add_f64_e32 v[197:198], v[209:210], v[197:198]
	v_mul_f64_e32 v[209:210], s[24:25], v[167:168]
	s_delay_alu instid0(VALU_DEP_4) | instskip(NEXT) | instid1(VALU_DEP_2)
	v_add_f64_e32 v[201:202], v[203:204], v[201:202]
	v_fma_f64 v[211:212], v[169:170], s[36:37], v[209:210]
	v_fma_f64 v[203:204], v[169:170], s[28:29], v[209:210]
	v_mul_f64_e32 v[209:210], s[22:23], v[146:147]
	s_delay_alu instid0(VALU_DEP_3) | instskip(SKIP_1) | instid1(VALU_DEP_4)
	v_add_f64_e32 v[195:196], v[211:212], v[195:196]
	v_mul_f64_e32 v[211:212], s[28:29], v[185:186]
	v_add_f64_e32 v[199:200], v[203:204], v[199:200]
	s_delay_alu instid0(VALU_DEP_2) | instskip(SKIP_3) | instid1(VALU_DEP_4)
	v_fma_f64 v[203:204], v[165:166], s[24:25], -v[211:212]
	v_fma_f64 v[223:224], v[165:166], s[24:25], v[211:212]
	v_mul_f64_e32 v[211:212], s[26:27], v[159:160]
	v_mul_f64_e32 v[159:160], s[36:37], v[159:160]
	v_add_f64_e32 v[203:204], v[203:204], v[201:202]
	v_fma_f64 v[201:202], v[187:188], s[34:35], v[225:226]
	v_add_f64_e32 v[223:224], v[223:224], v[197:198]
	v_fma_f64 v[197:198], v[187:188], s[14:15], v[225:226]
	v_fma_f64 v[239:240], v[122:123], s[24:25], -v[159:160]
	v_fma_f64 v[159:160], v[122:123], s[24:25], v[159:160]
	v_add_f64_e32 v[201:202], v[201:202], v[199:200]
	v_add_f64_e32 v[199:200], v[205:206], v[203:204]
	v_fma_f64 v[205:206], v[122:123], s[22:23], -v[211:212]
	v_add_f64_e32 v[197:198], v[197:198], v[195:196]
	v_fma_f64 v[195:196], v[177:178], s[16:17], v[227:228]
	v_fma_f64 v[203:204], v[148:149], s[26:27], v[209:210]
	v_add_f64_e32 v[213:214], v[239:240], v[213:214]
	v_add_f64_e32 v[159:160], v[159:160], v[247:248]
	;; [unrolled: 1-line block ×3, first 2 shown]
	v_mul_f64_e32 v[215:216], s[24:25], v[154:155]
	v_add_f64_e32 v[195:196], v[195:196], v[223:224]
	v_add_f64_e32 v[203:204], v[203:204], v[243:244]
	v_mul_f64_e32 v[243:244], s[24:25], v[146:147]
	s_delay_alu instid0(VALU_DEP_4) | instskip(NEXT) | instid1(VALU_DEP_1)
	v_fma_f64 v[223:224], v[157:158], s[36:37], v[215:216]
	v_add_f64_e32 v[203:204], v[223:224], v[203:204]
	v_mul_f64_e32 v[223:224], s[36:37], v[171:172]
	v_mul_f64_e32 v[171:172], s[34:35], v[171:172]
	s_delay_alu instid0(VALU_DEP_2) | instskip(NEXT) | instid1(VALU_DEP_1)
	v_fma_f64 v[225:226], v[114:115], s[24:25], -v[223:224]
	v_add_f64_e32 v[205:206], v[225:226], v[205:206]
	v_mul_f64_e32 v[225:226], s[20:21], v[167:168]
	s_delay_alu instid0(VALU_DEP_1) | instskip(NEXT) | instid1(VALU_DEP_1)
	v_fma_f64 v[227:228], v[169:170], s[38:39], v[225:226]
	v_add_f64_e32 v[203:204], v[227:228], v[203:204]
	v_mul_f64_e32 v[227:228], s[38:39], v[185:186]
	v_mul_f64_e32 v[185:186], s[2:3], v[185:186]
	s_delay_alu instid0(VALU_DEP_2) | instskip(NEXT) | instid1(VALU_DEP_1)
	v_fma_f64 v[237:238], v[165:166], s[20:21], -v[227:228]
	v_add_f64_e32 v[237:238], v[237:238], v[205:206]
	v_fma_f64 v[205:206], v[187:188], s[40:41], v[24:25]
	s_delay_alu instid0(VALU_DEP_1) | instskip(SKIP_1) | instid1(VALU_DEP_1)
	v_add_f64_e32 v[205:206], v[205:206], v[203:204]
	v_fma_f64 v[203:204], v[177:178], s[12:13], -v[26:27]
	v_add_f64_e32 v[203:204], v[203:204], v[237:238]
	v_fma_f64 v[237:238], v[148:149], s[36:37], v[243:244]
	s_delay_alu instid0(VALU_DEP_1) | instskip(SKIP_1) | instid1(VALU_DEP_1)
	v_add_f64_e32 v[237:238], v[237:238], v[241:242]
	v_mul_f64_e32 v[241:242], s[16:17], v[154:155]
	v_fma_f64 v[239:240], v[157:158], s[34:35], v[241:242]
	s_delay_alu instid0(VALU_DEP_1) | instskip(SKIP_2) | instid1(VALU_DEP_2)
	v_add_f64_e32 v[237:238], v[239:240], v[237:238]
	v_fma_f64 v[239:240], v[114:115], s[16:17], -v[171:172]
	v_fma_f64 v[171:172], v[114:115], s[16:17], v[171:172]
	v_add_f64_e32 v[213:214], v[239:240], v[213:214]
	v_fma_f64 v[239:240], v[169:170], s[2:3], v[233:234]
	s_delay_alu instid0(VALU_DEP_3) | instskip(SKIP_2) | instid1(VALU_DEP_4)
	v_add_f64_e32 v[159:160], v[171:172], v[159:160]
	v_fma_f64 v[171:172], v[169:170], s[40:41], v[233:234]
	v_mov_b32_e32 v233, v181
	v_add_f64_e32 v[237:238], v[239:240], v[237:238]
	v_fma_f64 v[239:240], v[165:166], s[12:13], -v[185:186]
	s_delay_alu instid0(VALU_DEP_1) | instskip(NEXT) | instid1(VALU_DEP_3)
	v_add_f64_e32 v[213:214], v[239:240], v[213:214]
	v_add_f64_e32 v[239:240], v[2:3], v[237:238]
	v_fma_f64 v[2:3], v[177:178], s[22:23], -v[189:190]
	s_delay_alu instid0(VALU_DEP_1) | instskip(SKIP_2) | instid1(VALU_DEP_2)
	v_add_f64_e32 v[237:238], v[2:3], v[213:214]
	v_fma_f64 v[2:3], v[148:149], s[28:29], v[243:244]
	v_fma_f64 v[213:214], v[157:158], s[14:15], v[241:242]
	v_add_f64_e32 v[2:3], v[2:3], v[245:246]
	v_dual_mov_b32 v248, v31 :: v_dual_mov_b32 v247, v30
	v_dual_mov_b32 v245, v28 :: v_dual_mov_b32 v246, v29
	s_clause 0x3
	scratch_load_b32 v31, off, off offset:80
	scratch_load_b32 v30, off, off offset:72
	scratch_load_b32 v29, off, off offset:40
	scratch_load_b32 v28, off, off offset:36
	v_add_f64_e32 v[2:3], v[213:214], v[2:3]
	s_delay_alu instid0(VALU_DEP_1) | instskip(SKIP_1) | instid1(VALU_DEP_2)
	v_add_f64_e32 v[2:3], v[171:172], v[2:3]
	v_fma_f64 v[171:172], v[165:166], s[12:13], v[185:186]
	v_add_f64_e32 v[243:244], v[0:1], v[2:3]
	s_delay_alu instid0(VALU_DEP_2)
	v_add_f64_e32 v[159:160], v[171:172], v[159:160]
	v_fma_f64 v[171:172], v[177:178], s[22:23], v[189:190]
	v_fma_f64 v[0:1], v[148:149], s[30:31], v[209:210]
	;; [unrolled: 1-line block ×5, first 2 shown]
	v_dual_mov_b32 v25, v130 :: v_dual_mov_b32 v216, v11
	v_dual_mov_b32 v215, v10 :: v_dual_mov_b32 v214, v9
	;; [unrolled: 1-line block ×3, first 2 shown]
	v_mov_b32_e32 v24, v129
	v_add_f64_e32 v[241:242], v[171:172], v[159:160]
	v_add_f64_e32 v[0:1], v[0:1], v[249:250]
	v_fma_f64 v[159:160], v[122:123], s[22:23], v[211:212]
	v_dual_mov_b32 v212, v7 :: v_dual_mov_b32 v211, v6
	v_dual_mov_b32 v210, v5 :: v_dual_mov_b32 v209, v4
	v_mov_b32_e32 v7, v36
	s_clause 0x2
	scratch_load_b32 v6, off, off offset:48
	scratch_load_b32 v5, off, off offset:44
	;; [unrolled: 1-line block ×3, first 2 shown]
	v_add_f64_e32 v[0:1], v[2:3], v[0:1]
	v_add_f64_e32 v[159:160], v[159:160], v[251:252]
	v_fma_f64 v[2:3], v[114:115], s[24:25], v[223:224]
	v_dual_mov_b32 v252, v35 :: v_dual_mov_b32 v251, v34
	v_dual_mov_b32 v250, v33 :: v_dual_mov_b32 v249, v32
	s_clause 0x1
	scratch_load_b128 v[33:36], off, off offset:56
	scratch_load_b32 v32, off, off offset:52
	v_mul_f64_e32 v[114:115], s[20:21], v[114:115]
	v_add_f64_e32 v[0:1], v[148:149], v[0:1]
	v_fma_f64 v[148:149], v[165:166], s[20:21], v[227:228]
	v_add_f64_e32 v[2:3], v[2:3], v[159:160]
	v_dual_mov_b32 v228, v23 :: v_dual_mov_b32 v227, v22
	v_dual_mov_b32 v226, v21 :: v_dual_mov_b32 v225, v20
	v_mov_b32_e32 v22, v162
	v_add_f64_e64 v[114:115], v[114:115], -v[175:176]
	v_dual_mov_b32 v20, v153 :: v_dual_mov_b32 v23, v128
	v_mov_b32_e32 v21, v161
	v_add_f64_e32 v[159:160], v[157:158], v[0:1]
	v_mul_f64_e32 v[0:1], s[16:17], v[146:147]
	v_add_f64_e32 v[2:3], v[148:149], v[2:3]
	v_fma_f64 v[148:149], v[177:178], s[12:13], v[26:27]
	v_mul_f64_e32 v[146:147], s[22:23], v[167:168]
	v_dual_mov_b32 v27, v163 :: v_dual_mov_b32 v26, v131
	v_add_f64_e32 v[0:1], v[173:174], v[0:1]
	s_delay_alu instid0(VALU_DEP_4)
	v_add_f64_e32 v[157:158], v[148:149], v[2:3]
	v_mul_f64_e32 v[2:3], s[16:17], v[122:123]
	v_mul_f64_e32 v[122:123], s[20:21], v[154:155]
	;; [unrolled: 1-line block ×3, first 2 shown]
	v_add_f64_e32 v[146:147], v[60:61], v[146:147]
	v_add_f64_e32 v[0:1], v[0:1], v[253:254]
	v_add_f64_e64 v[2:3], v[2:3], -v[37:38]
	scratch_load_b64 v[37:38], off, off offset:100 th:TH_LOAD_LU ; 8-byte Folded Reload
	v_add_f64_e32 v[122:123], v[150:151], v[122:123]
	v_add_f64_e64 v[148:149], v[148:149], -v[183:184]
	v_add_f64_e32 v[2:3], v[2:3], v[221:222]
	v_mov_b32_e32 v224, v19
	s_delay_alu instid0(VALU_DEP_4)
	v_add_f64_e32 v[0:1], v[122:123], v[0:1]
	v_mul_f64_e32 v[122:123], s[24:25], v[177:178]
	v_dual_mov_b32 v223, v18 :: v_dual_mov_b32 v222, v17
	v_dual_mov_b32 v221, v16 :: v_dual_mov_b32 v16, v236
	;; [unrolled: 1-line block ×3, first 2 shown]
	v_mov_b32_e32 v17, v62
	v_add_f64_e32 v[2:3], v[114:115], v[2:3]
	v_mul_f64_e32 v[114:115], s[24:25], v[179:180]
	v_add_f64_e32 v[0:1], v[146:147], v[0:1]
	s_delay_alu instid0(VALU_DEP_3) | instskip(SKIP_1) | instid1(VALU_DEP_3)
	v_add_f64_e32 v[2:3], v[148:149], v[2:3]
	s_wait_loadcnt 0x0
	v_add_f64_e32 v[114:115], v[37:38], v[114:115]
	scratch_load_b64 v[37:38], off, off offset:108 th:TH_LOAD_LU ; 8-byte Folded Reload
	v_add_f64_e32 v[148:149], v[114:115], v[0:1]
	scratch_load_b64 v[0:1], off, off offset:84 th:TH_LOAD_LU ; 8-byte Folded Reload
	s_wait_loadcnt 0x1
	v_add_f64_e64 v[122:123], v[122:123], -v[37:38]
	s_delay_alu instid0(VALU_DEP_1)
	v_add_f64_e32 v[146:147], v[122:123], v[2:3]
	s_clause 0x1
	scratch_load_b64 v[2:3], off, off offset:92 th:TH_LOAD_LU
	scratch_load_b32 v236, off, off offset:76
	s_wait_loadcnt 0x2
	v_add_f64_e32 v[0:1], v[0:1], v[138:139]
	s_delay_alu instid0(VALU_DEP_1) | instskip(NEXT) | instid1(VALU_DEP_1)
	v_add_f64_e32 v[0:1], v[0:1], v[134:135]
	v_add_f64_e32 v[0:1], v[0:1], v[144:145]
	s_delay_alu instid0(VALU_DEP_1) | instskip(NEXT) | instid1(VALU_DEP_1)
	v_add_f64_e32 v[0:1], v[0:1], v[120:121]
	;; [unrolled: 3-line block ×3, first 2 shown]
	v_add_f64_e32 v[0:1], v[0:1], v[110:111]
	s_delay_alu instid0(VALU_DEP_1) | instskip(SKIP_2) | instid1(VALU_DEP_1)
	v_add_f64_e32 v[0:1], v[0:1], v[126:127]
	s_wait_loadcnt 0x1
	v_add_f64_e32 v[2:3], v[2:3], v[136:137]
	v_add_f64_e32 v[2:3], v[2:3], v[132:133]
	s_delay_alu instid0(VALU_DEP_1) | instskip(NEXT) | instid1(VALU_DEP_1)
	v_add_f64_e32 v[2:3], v[2:3], v[142:143]
	v_add_f64_e32 v[2:3], v[2:3], v[100:101]
	s_delay_alu instid0(VALU_DEP_1) | instskip(SKIP_2) | instid1(VALU_DEP_1)
	v_add_f64_e32 v[2:3], v[2:3], v[102:103]
	v_add_f64_e32 v[102:103], v[0:1], v[106:107]
	v_mul_u32_u24_e32 v0, 0x160, v5
	v_or_b32_e32 v0, v0, v4
	s_delay_alu instid0(VALU_DEP_1) | instskip(SKIP_1) | instid1(VALU_DEP_1)
	v_lshlrev_b32_e32 v0, 4, v0
	v_add_f64_e32 v[2:3], v[2:3], v[116:117]
	v_add_f64_e32 v[2:3], v[2:3], v[108:109]
	s_delay_alu instid0(VALU_DEP_1) | instskip(NEXT) | instid1(VALU_DEP_1)
	v_add_f64_e32 v[2:3], v[2:3], v[124:125]
	v_add_f64_e32 v[100:101], v[2:3], v[104:105]
	ds_store_b128 v0, v[203:206] offset:1024
	ds_store_b128 v0, v[237:240] offset:1536
	;; [unrolled: 1-line block ×9, first 2 shown]
	ds_store_b128 v0, v[100:103]
	ds_store_b128 v0, v[33:36] offset:5120
.LBB0_5:
	s_or_b32 exec_lo, exec_lo, s33
	v_lshlrev_b32_e32 v112, 6, v16
	global_wb scope:SCOPE_SE
	s_wait_storecnt 0x0
	s_wait_loadcnt_dscnt 0x0
	s_barrier_signal -1
	s_barrier_wait -1
	global_inv scope:SCOPE_SE
	s_clause 0x1
	global_load_b128 v[96:99], v112, s[10:11] offset:5600
	global_load_b128 v[100:103], v112, s[10:11] offset:5616
	ds_load_b128 v[104:107], v208 offset:5632
	ds_load_b128 v[132:135], v208 offset:8448
	v_lshlrev_b32_e32 v146, 6, v39
	s_mov_b32 s12, 0x134454ff
	s_mov_b32 s13, 0x3fee6f0e
	;; [unrolled: 1-line block ×3, first 2 shown]
	s_wait_alu 0xfffe
	s_mov_b32 s14, s12
	s_mov_b32 s2, 0x4755a5e
	;; [unrolled: 1-line block ×5, first 2 shown]
	s_wait_loadcnt_dscnt 0x101
	v_mul_f64_e32 v[0:1], v[106:107], v[98:99]
	v_mul_f64_e32 v[2:3], v[104:105], v[98:99]
	s_delay_alu instid0(VALU_DEP_2) | instskip(NEXT) | instid1(VALU_DEP_2)
	v_fma_f64 v[0:1], v[104:105], v[96:97], -v[0:1]
	v_fma_f64 v[2:3], v[106:107], v[96:97], v[2:3]
	ds_load_b128 v[104:107], v208 offset:11264
	ds_load_b128 v[120:123], v208 offset:14080
	s_wait_loadcnt_dscnt 0x1
	v_mul_f64_e32 v[108:109], v[106:107], v[102:103]
	s_delay_alu instid0(VALU_DEP_1) | instskip(SKIP_1) | instid1(VALU_DEP_1)
	v_fma_f64 v[150:151], v[104:105], v[100:101], -v[108:109]
	v_mul_f64_e32 v[104:105], v[104:105], v[102:103]
	v_fma_f64 v[152:153], v[106:107], v[100:101], v[104:105]
	s_clause 0x1
	global_load_b128 v[108:111], v112, s[10:11] offset:5632
	global_load_b128 v[104:107], v112, s[10:11] offset:5648
	ds_load_b128 v[112:115], v208 offset:16896
	ds_load_b128 v[136:139], v208 offset:19712
	s_wait_loadcnt_dscnt 0x101
	v_mul_f64_e32 v[116:117], v[114:115], v[110:111]
	s_delay_alu instid0(VALU_DEP_1) | instskip(SKIP_1) | instid1(VALU_DEP_2)
	v_fma_f64 v[154:155], v[112:113], v[108:109], -v[116:117]
	v_mul_f64_e32 v[112:113], v[112:113], v[110:111]
	v_add_f64_e64 v[189:190], v[150:151], -v[154:155]
	s_delay_alu instid0(VALU_DEP_2)
	v_fma_f64 v[157:158], v[114:115], v[108:109], v[112:113]
	ds_load_b128 v[112:115], v208 offset:22528
	ds_load_b128 v[142:145], v208 offset:25344
	s_wait_loadcnt_dscnt 0x1
	v_mul_f64_e32 v[116:117], v[114:115], v[106:107]
	v_add_f64_e64 v[185:186], v[152:153], -v[157:158]
	s_delay_alu instid0(VALU_DEP_2) | instskip(SKIP_1) | instid1(VALU_DEP_2)
	v_fma_f64 v[159:160], v[112:113], v[104:105], -v[116:117]
	v_mul_f64_e32 v[112:113], v[112:113], v[106:107]
	v_add_f64_e64 v[187:188], v[0:1], -v[159:160]
	s_delay_alu instid0(VALU_DEP_2)
	v_fma_f64 v[161:162], v[114:115], v[104:105], v[112:113]
	s_clause 0x1
	global_load_b128 v[116:119], v146, s[10:11] offset:5616
	global_load_b128 v[112:115], v146, s[10:11] offset:5600
	v_add_f64_e64 v[167:168], v[2:3], -v[161:162]
	s_wait_loadcnt 0x1
	v_mul_f64_e32 v[124:125], v[122:123], v[118:119]
	s_delay_alu instid0(VALU_DEP_1) | instskip(SKIP_1) | instid1(VALU_DEP_1)
	v_fma_f64 v[169:170], v[120:121], v[116:117], -v[124:125]
	v_mul_f64_e32 v[120:121], v[120:121], v[118:119]
	v_fma_f64 v[171:172], v[122:123], v[116:117], v[120:121]
	s_clause 0x1
	global_load_b128 v[124:127], v146, s[10:11] offset:5632
	global_load_b128 v[120:123], v146, s[10:11] offset:5648
	s_mov_b32 s11, 0xbfe2cf23
	s_wait_alu 0xfffe
	s_mov_b32 s10, s2
	s_wait_loadcnt 0x1
	v_mul_f64_e32 v[146:147], v[138:139], v[126:127]
	s_delay_alu instid0(VALU_DEP_1) | instskip(SKIP_1) | instid1(VALU_DEP_1)
	v_fma_f64 v[173:174], v[136:137], v[124:125], -v[146:147]
	v_mul_f64_e32 v[136:137], v[136:137], v[126:127]
	v_fma_f64 v[175:176], v[138:139], v[124:125], v[136:137]
	v_mul_f64_e32 v[136:137], v[134:135], v[114:115]
	s_delay_alu instid0(VALU_DEP_1) | instskip(SKIP_1) | instid1(VALU_DEP_1)
	v_fma_f64 v[177:178], v[132:133], v[112:113], -v[136:137]
	v_mul_f64_e32 v[132:133], v[132:133], v[114:115]
	v_fma_f64 v[179:180], v[134:135], v[112:113], v[132:133]
	s_wait_loadcnt_dscnt 0x0
	v_mul_f64_e32 v[132:133], v[144:145], v[122:123]
	v_add_f64_e64 v[134:135], v[159:160], -v[154:155]
	s_delay_alu instid0(VALU_DEP_2) | instskip(SKIP_2) | instid1(VALU_DEP_3)
	v_fma_f64 v[181:182], v[142:143], v[120:121], -v[132:133]
	v_mul_f64_e32 v[132:133], v[142:143], v[122:123]
	v_add_f64_e32 v[142:143], v[150:151], v[154:155]
	v_add_f64_e64 v[191:192], v[177:178], -v[181:182]
	s_delay_alu instid0(VALU_DEP_3) | instskip(SKIP_1) | instid1(VALU_DEP_1)
	v_fma_f64 v[183:184], v[144:145], v[120:121], v[132:133]
	v_add_f64_e64 v[132:133], v[0:1], -v[150:151]
	v_add_f64_e32 v[146:147], v[132:133], v[134:135]
	v_add_f64_e64 v[132:133], v[2:3], -v[152:153]
	v_add_f64_e64 v[134:135], v[161:162], -v[157:158]
	s_delay_alu instid0(VALU_DEP_1)
	v_add_f64_e32 v[148:149], v[132:133], v[134:135]
	ds_load_b128 v[132:135], v208
	ds_load_b128 v[136:139], v208 offset:2816
	s_wait_dscnt 0x1
	v_fma_f64 v[163:164], v[142:143], -0.5, v[132:133]
	v_add_f64_e32 v[142:143], v[152:153], v[157:158]
	s_delay_alu instid0(VALU_DEP_1) | instskip(NEXT) | instid1(VALU_DEP_3)
	v_fma_f64 v[165:166], v[142:143], -0.5, v[134:135]
	v_fma_f64 v[142:143], v[167:168], s[12:13], v[163:164]
	v_fma_f64 v[163:164], v[167:168], s[14:15], v[163:164]
	s_delay_alu instid0(VALU_DEP_3) | instskip(SKIP_1) | instid1(VALU_DEP_4)
	v_fma_f64 v[144:145], v[187:188], s[14:15], v[165:166]
	v_fma_f64 v[165:166], v[187:188], s[12:13], v[165:166]
	;; [unrolled: 1-line block ×3, first 2 shown]
	s_wait_alu 0xfffe
	s_delay_alu instid0(VALU_DEP_4) | instskip(NEXT) | instid1(VALU_DEP_4)
	v_fma_f64 v[163:164], v[185:186], s[10:11], v[163:164]
	v_fma_f64 v[144:145], v[189:190], s[10:11], v[144:145]
	s_delay_alu instid0(VALU_DEP_4) | instskip(NEXT) | instid1(VALU_DEP_4)
	v_fma_f64 v[165:166], v[189:190], s[2:3], v[165:166]
	v_fma_f64 v[142:143], v[146:147], s[16:17], v[142:143]
	s_delay_alu instid0(VALU_DEP_4) | instskip(SKIP_4) | instid1(VALU_DEP_4)
	v_fma_f64 v[146:147], v[146:147], s[16:17], v[163:164]
	v_add_f64_e32 v[163:164], v[0:1], v[159:160]
	v_fma_f64 v[144:145], v[148:149], s[16:17], v[144:145]
	v_fma_f64 v[148:149], v[148:149], s[16:17], v[165:166]
	v_add_f64_e32 v[165:166], v[2:3], v[161:162]
	v_fma_f64 v[163:164], v[163:164], -0.5, v[132:133]
	v_add_f64_e32 v[132:133], v[132:133], v[0:1]
	v_add_f64_e64 v[0:1], v[150:151], -v[0:1]
	s_delay_alu instid0(VALU_DEP_4) | instskip(SKIP_4) | instid1(VALU_DEP_4)
	v_fma_f64 v[165:166], v[165:166], -0.5, v[134:135]
	v_add_f64_e32 v[134:135], v[134:135], v[2:3]
	v_add_f64_e64 v[2:3], v[152:153], -v[2:3]
	v_add_f64_e32 v[132:133], v[132:133], v[150:151]
	v_add_f64_e64 v[150:151], v[154:155], -v[159:160]
	;; [unrolled: 2-line block ×3, first 2 shown]
	s_delay_alu instid0(VALU_DEP_4)
	v_add_f64_e32 v[132:133], v[132:133], v[154:155]
	v_fma_f64 v[154:155], v[185:186], s[14:15], v[163:164]
	v_add_f64_e32 v[0:1], v[0:1], v[150:151]
	v_add_f64_e32 v[134:135], v[134:135], v[157:158]
	v_fma_f64 v[157:158], v[185:186], s[12:13], v[163:164]
	v_add_f64_e32 v[132:133], v[132:133], v[159:160]
	v_fma_f64 v[159:160], v[189:190], s[12:13], v[165:166]
	;; [unrolled: 2-line block ×3, first 2 shown]
	v_add_f64_e64 v[185:186], v[171:172], -v[175:176]
	v_add_f64_e32 v[134:135], v[134:135], v[161:162]
	v_fma_f64 v[161:162], v[189:190], s[14:15], v[165:166]
	v_fma_f64 v[154:155], v[167:168], s[10:11], v[157:158]
	;; [unrolled: 1-line block ×3, first 2 shown]
	v_add_f64_e64 v[189:190], v[169:170], -v[173:174]
	v_fma_f64 v[150:151], v[0:1], s[16:17], v[150:151]
	v_fma_f64 v[159:160], v[187:188], s[2:3], v[161:162]
	;; [unrolled: 1-line block ×4, first 2 shown]
	v_add_f64_e64 v[0:1], v[169:170], -v[177:178]
	v_add_f64_e64 v[154:155], v[175:176], -v[183:184]
	v_add_f64_e32 v[161:162], v[179:180], v[183:184]
	v_add_f64_e64 v[187:188], v[179:180], -v[183:184]
	v_fma_f64 v[159:160], v[2:3], s[16:17], v[159:160]
	v_add_f64_e64 v[2:3], v[173:174], -v[181:182]
	s_wait_dscnt 0x0
	s_delay_alu instid0(VALU_DEP_4) | instskip(NEXT) | instid1(VALU_DEP_2)
	v_fma_f64 v[165:166], v[161:162], -0.5, v[138:139]
	v_add_f64_e32 v[0:1], v[0:1], v[2:3]
	v_add_f64_e64 v[2:3], v[171:172], -v[179:180]
	s_delay_alu instid0(VALU_DEP_3) | instskip(SKIP_1) | instid1(VALU_DEP_3)
	v_fma_f64 v[163:164], v[189:190], s[12:13], v[165:166]
	v_fma_f64 v[165:166], v[189:190], s[14:15], v[165:166]
	v_add_f64_e32 v[2:3], v[2:3], v[154:155]
	v_add_f64_e32 v[154:155], v[177:178], v[181:182]
	s_delay_alu instid0(VALU_DEP_4) | instskip(NEXT) | instid1(VALU_DEP_4)
	v_fma_f64 v[163:164], v[191:192], s[10:11], v[163:164]
	v_fma_f64 v[167:168], v[191:192], s[2:3], v[165:166]
	s_delay_alu instid0(VALU_DEP_3) | instskip(NEXT) | instid1(VALU_DEP_3)
	v_fma_f64 v[154:155], v[154:155], -0.5, v[136:137]
	v_fma_f64 v[163:164], v[2:3], s[16:17], v[163:164]
	s_delay_alu instid0(VALU_DEP_3) | instskip(SKIP_1) | instid1(VALU_DEP_4)
	v_fma_f64 v[167:168], v[2:3], s[16:17], v[167:168]
	v_add_f64_e32 v[2:3], v[171:172], v[175:176]
	v_fma_f64 v[161:162], v[185:186], s[14:15], v[154:155]
	v_fma_f64 v[154:155], v[185:186], s[12:13], v[154:155]
	s_delay_alu instid0(VALU_DEP_3) | instskip(SKIP_1) | instid1(VALU_DEP_4)
	v_fma_f64 v[2:3], v[2:3], -0.5, v[138:139]
	v_add_f64_e32 v[138:139], v[138:139], v[179:180]
	v_fma_f64 v[161:162], v[187:188], s[2:3], v[161:162]
	s_delay_alu instid0(VALU_DEP_4) | instskip(NEXT) | instid1(VALU_DEP_3)
	v_fma_f64 v[154:155], v[187:188], s[10:11], v[154:155]
	v_add_f64_e32 v[138:139], v[138:139], v[171:172]
	s_delay_alu instid0(VALU_DEP_3) | instskip(NEXT) | instid1(VALU_DEP_3)
	v_fma_f64 v[161:162], v[0:1], s[16:17], v[161:162]
	v_fma_f64 v[165:166], v[0:1], s[16:17], v[154:155]
	v_add_f64_e32 v[0:1], v[169:170], v[173:174]
	v_add_f64_e64 v[154:155], v[177:178], -v[169:170]
	v_add_f64_e32 v[138:139], v[138:139], v[175:176]
	s_delay_alu instid0(VALU_DEP_3) | instskip(SKIP_4) | instid1(VALU_DEP_4)
	v_fma_f64 v[0:1], v[0:1], -0.5, v[136:137]
	v_add_f64_e32 v[136:137], v[136:137], v[177:178]
	v_fma_f64 v[177:178], v[191:192], s[14:15], v[2:3]
	v_fma_f64 v[2:3], v[191:192], s[12:13], v[2:3]
	v_add_f64_e32 v[138:139], v[138:139], v[183:184]
	v_add_f64_e32 v[136:137], v[136:137], v[169:170]
	v_add_f64_e64 v[169:170], v[179:180], -v[171:172]
	v_add_f64_e64 v[171:172], v[181:182], -v[173:174]
	v_fma_f64 v[2:3], v[189:190], s[2:3], v[2:3]
	s_delay_alu instid0(VALU_DEP_4)
	v_add_f64_e32 v[136:137], v[136:137], v[173:174]
	v_add_f64_e64 v[173:174], v[183:184], -v[175:176]
	v_fma_f64 v[175:176], v[187:188], s[12:13], v[0:1]
	v_fma_f64 v[0:1], v[187:188], s[14:15], v[0:1]
	v_add_f64_e32 v[154:155], v[154:155], v[171:172]
	v_fma_f64 v[171:172], v[189:190], s[10:11], v[177:178]
	v_add_f64_e32 v[136:137], v[136:137], v[181:182]
	v_add_f64_e32 v[179:180], v[169:170], v[173:174]
	v_fma_f64 v[169:170], v[185:186], s[2:3], v[175:176]
	v_fma_f64 v[0:1], v[185:186], s[10:11], v[0:1]
	s_add_nc_u64 s[2:3], s[8:9], 0x6e00
	s_delay_alu instid0(VALU_DEP_3) | instskip(NEXT) | instid1(VALU_DEP_3)
	v_fma_f64 v[171:172], v[179:180], s[16:17], v[171:172]
	v_fma_f64 v[169:170], v[154:155], s[16:17], v[169:170]
	s_delay_alu instid0(VALU_DEP_3)
	v_fma_f64 v[173:174], v[154:155], s[16:17], v[0:1]
	v_fma_f64 v[175:176], v[179:180], s[16:17], v[2:3]
	ds_store_b128 v208, v[132:135]
	ds_store_b128 v208, v[136:139] offset:2816
	ds_store_b128 v208, v[142:145] offset:5632
	ds_store_b128 v208, v[169:172] offset:8448
	ds_store_b128 v208, v[150:153] offset:11264
	ds_store_b128 v208, v[161:164] offset:14080
	ds_store_b128 v208, v[157:160] offset:16896
	ds_store_b128 v208, v[165:168] offset:19712
	ds_store_b128 v208, v[146:149] offset:22528
	ds_store_b128 v208, v[173:176] offset:25344
	global_wb scope:SCOPE_SE
	s_wait_dscnt 0x0
	s_barrier_signal -1
	s_barrier_wait -1
	global_inv scope:SCOPE_SE
	global_load_b128 v[132:135], v[140:141], off offset:28160
	ds_load_b128 v[136:139], v208
	ds_load_b128 v[140:143], v208 offset:2816
	ds_load_b128 v[148:151], v208 offset:14080
	;; [unrolled: 1-line block ×3, first 2 shown]
	s_wait_loadcnt_dscnt 0x3
	v_mul_f64_e32 v[0:1], v[138:139], v[134:135]
	v_mul_f64_e32 v[2:3], v[136:137], v[134:135]
	s_delay_alu instid0(VALU_DEP_2) | instskip(NEXT) | instid1(VALU_DEP_2)
	v_fma_f64 v[134:135], v[136:137], v[132:133], -v[0:1]
	v_fma_f64 v[136:137], v[138:139], v[132:133], v[2:3]
	v_lshlrev_b32_e32 v132, 4, v16
	s_clause 0x3
	global_load_b128 v[144:147], v132, s[2:3] offset:14080
	global_load_b128 v[152:155], v132, s[2:3] offset:16896
	;; [unrolled: 1-line block ×4, first 2 shown]
	s_wait_loadcnt_dscnt 0x301
	v_mul_f64_e32 v[0:1], v[150:151], v[146:147]
	v_mul_f64_e32 v[2:3], v[148:149], v[146:147]
	s_delay_alu instid0(VALU_DEP_2) | instskip(NEXT) | instid1(VALU_DEP_2)
	v_fma_f64 v[146:147], v[148:149], v[144:145], -v[0:1]
	v_fma_f64 v[148:149], v[150:151], v[144:145], v[2:3]
	s_wait_loadcnt 0x1
	v_mul_f64_e32 v[0:1], v[142:143], v[163:164]
	v_mul_f64_e32 v[2:3], v[140:141], v[163:164]
	s_delay_alu instid0(VALU_DEP_2) | instskip(NEXT) | instid1(VALU_DEP_2)
	v_fma_f64 v[138:139], v[140:141], v[161:162], -v[0:1]
	v_fma_f64 v[140:141], v[142:143], v[161:162], v[2:3]
	ds_load_b128 v[142:145], v208 offset:16896
	ds_load_b128 v[161:164], v208 offset:19712
	s_wait_dscnt 0x1
	v_mul_f64_e32 v[0:1], v[144:145], v[154:155]
	v_mul_f64_e32 v[2:3], v[142:143], v[154:155]
	s_delay_alu instid0(VALU_DEP_2) | instskip(NEXT) | instid1(VALU_DEP_2)
	v_fma_f64 v[142:143], v[142:143], v[152:153], -v[0:1]
	v_fma_f64 v[144:145], v[144:145], v[152:153], v[2:3]
	ds_load_b128 v[150:153], v208 offset:5632
	ds_load_b128 v[169:172], v208 offset:8448
	s_wait_loadcnt_dscnt 0x1
	v_mul_f64_e32 v[0:1], v[152:153], v[167:168]
	v_mul_f64_e32 v[2:3], v[150:151], v[167:168]
	s_delay_alu instid0(VALU_DEP_2) | instskip(NEXT) | instid1(VALU_DEP_2)
	v_fma_f64 v[150:151], v[150:151], v[165:166], -v[0:1]
	v_fma_f64 v[152:153], v[152:153], v[165:166], v[2:3]
	s_clause 0x1
	global_load_b128 v[165:168], v132, s[2:3] offset:19712
	global_load_b128 v[173:176], v132, s[2:3] offset:22528
	s_wait_loadcnt 0x1
	v_mul_f64_e32 v[0:1], v[163:164], v[167:168]
	v_mul_f64_e32 v[2:3], v[161:162], v[167:168]
	s_delay_alu instid0(VALU_DEP_2) | instskip(NEXT) | instid1(VALU_DEP_2)
	v_fma_f64 v[161:162], v[161:162], v[165:166], -v[0:1]
	v_fma_f64 v[163:164], v[163:164], v[165:166], v[2:3]
	s_clause 0x1
	global_load_b128 v[165:168], v132, s[2:3] offset:8448
	global_load_b128 v[177:180], v132, s[2:3] offset:11264
	ds_load_b128 v[181:184], v208 offset:22528
	ds_load_b128 v[185:188], v208 offset:25344
	s_wait_loadcnt_dscnt 0x102
	v_mul_f64_e32 v[0:1], v[171:172], v[167:168]
	v_mul_f64_e32 v[2:3], v[169:170], v[167:168]
	s_delay_alu instid0(VALU_DEP_2) | instskip(NEXT) | instid1(VALU_DEP_2)
	v_fma_f64 v[167:168], v[169:170], v[165:166], -v[0:1]
	v_fma_f64 v[169:170], v[171:172], v[165:166], v[2:3]
	s_wait_dscnt 0x1
	v_mul_f64_e32 v[0:1], v[183:184], v[175:176]
	v_mul_f64_e32 v[2:3], v[181:182], v[175:176]
	s_delay_alu instid0(VALU_DEP_2) | instskip(NEXT) | instid1(VALU_DEP_2)
	v_fma_f64 v[171:172], v[181:182], v[173:174], -v[0:1]
	v_fma_f64 v[173:174], v[183:184], v[173:174], v[2:3]
	s_wait_loadcnt 0x0
	v_mul_f64_e32 v[0:1], v[159:160], v[179:180]
	v_mul_f64_e32 v[2:3], v[157:158], v[179:180]
	s_delay_alu instid0(VALU_DEP_2) | instskip(NEXT) | instid1(VALU_DEP_2)
	v_fma_f64 v[157:158], v[157:158], v[177:178], -v[0:1]
	v_fma_f64 v[159:160], v[159:160], v[177:178], v[2:3]
	global_load_b128 v[175:178], v132, s[2:3] offset:25344
	s_wait_loadcnt_dscnt 0x0
	v_mul_f64_e32 v[0:1], v[187:188], v[177:178]
	v_mul_f64_e32 v[2:3], v[185:186], v[177:178]
	s_delay_alu instid0(VALU_DEP_2) | instskip(NEXT) | instid1(VALU_DEP_2)
	v_fma_f64 v[177:178], v[185:186], v[175:176], -v[0:1]
	v_fma_f64 v[179:180], v[187:188], v[175:176], v[2:3]
	ds_store_b128 v208, v[134:137]
	ds_store_b128 v208, v[138:141] offset:2816
	ds_store_b128 v208, v[142:145] offset:16896
	;; [unrolled: 1-line block ×9, first 2 shown]
	global_wb scope:SCOPE_SE
	s_wait_dscnt 0x0
	s_barrier_signal -1
	s_barrier_wait -1
	global_inv scope:SCOPE_SE
	ds_load_b128 v[132:135], v208 offset:14080
	ds_load_b128 v[136:139], v208
	ds_load_b128 v[140:143], v208 offset:2816
	ds_load_b128 v[144:147], v208 offset:11264
	;; [unrolled: 1-line block ×8, first 2 shown]
	global_wb scope:SCOPE_SE
	s_wait_dscnt 0x0
	s_barrier_signal -1
	s_barrier_wait -1
	global_inv scope:SCOPE_SE
	v_add_f64_e64 v[132:133], v[136:137], -v[132:133]
	v_add_f64_e64 v[134:135], v[138:139], -v[134:135]
	s_delay_alu instid0(VALU_DEP_2) | instskip(NEXT) | instid1(VALU_DEP_2)
	v_fma_f64 v[136:137], v[136:137], 2.0, -v[132:133]
	v_fma_f64 v[138:139], v[138:139], 2.0, -v[134:135]
	ds_store_b128 v207, v[132:135] offset:16
	ds_store_b128 v207, v[136:139]
	v_add_f64_e64 v[132:133], v[140:141], -v[148:149]
	v_add_f64_e64 v[134:135], v[142:143], -v[150:151]
	s_delay_alu instid0(VALU_DEP_2) | instskip(NEXT) | instid1(VALU_DEP_2)
	v_fma_f64 v[136:137], v[140:141], 2.0, -v[132:133]
	v_fma_f64 v[138:139], v[142:143], 2.0, -v[134:135]
	ds_store_b128 v31, v[136:139]
	ds_store_b128 v31, v[132:135] offset:16
	v_add_f64_e64 v[132:133], v[157:158], -v[152:153]
	v_add_f64_e64 v[134:135], v[159:160], -v[154:155]
	s_delay_alu instid0(VALU_DEP_2) | instskip(NEXT) | instid1(VALU_DEP_2)
	v_fma_f64 v[136:137], v[157:158], 2.0, -v[132:133]
	v_fma_f64 v[138:139], v[159:160], 2.0, -v[134:135]
	ds_store_b128 v28, v[136:139]
	ds_store_b128 v28, v[132:135] offset:16
	;; [unrolled: 7-line block ×4, first 2 shown]
	global_wb scope:SCOPE_SE
	s_wait_dscnt 0x0
	s_barrier_signal -1
	s_barrier_wait -1
	global_inv scope:SCOPE_SE
	ds_load_b128 v[132:135], v208 offset:14080
	ds_load_b128 v[136:139], v208 offset:11264
	s_wait_dscnt 0x1
	v_mul_f64_e32 v[0:1], v[58:59], v[134:135]
	v_mul_f64_e32 v[2:3], v[58:59], v[132:133]
	s_delay_alu instid0(VALU_DEP_2) | instskip(NEXT) | instid1(VALU_DEP_2)
	v_fma_f64 v[0:1], v[56:57], v[132:133], v[0:1]
	v_fma_f64 v[2:3], v[56:57], v[134:135], -v[2:3]
	ds_load_b128 v[132:135], v208 offset:16896
	ds_load_b128 v[140:143], v208 offset:19712
	s_wait_dscnt 0x1
	v_mul_f64_e32 v[144:145], v[58:59], v[134:135]
	s_delay_alu instid0(VALU_DEP_1) | instskip(SKIP_1) | instid1(VALU_DEP_1)
	v_fma_f64 v[152:153], v[56:57], v[132:133], v[144:145]
	v_mul_f64_e32 v[132:133], v[58:59], v[132:133]
	v_fma_f64 v[154:155], v[56:57], v[134:135], -v[132:133]
	s_wait_dscnt 0x0
	v_mul_f64_e32 v[132:133], v[58:59], v[142:143]
	s_delay_alu instid0(VALU_DEP_1) | instskip(SKIP_1) | instid1(VALU_DEP_1)
	v_fma_f64 v[157:158], v[56:57], v[140:141], v[132:133]
	v_mul_f64_e32 v[132:133], v[58:59], v[140:141]
	v_fma_f64 v[159:160], v[56:57], v[142:143], -v[132:133]
	ds_load_b128 v[132:135], v208 offset:22528
	ds_load_b128 v[140:143], v208 offset:25344
	s_wait_dscnt 0x1
	v_mul_f64_e32 v[144:145], v[58:59], v[134:135]
	s_delay_alu instid0(VALU_DEP_1) | instskip(SKIP_1) | instid1(VALU_DEP_1)
	v_fma_f64 v[161:162], v[56:57], v[132:133], v[144:145]
	v_mul_f64_e32 v[132:133], v[58:59], v[132:133]
	v_fma_f64 v[163:164], v[56:57], v[134:135], -v[132:133]
	s_wait_dscnt 0x0
	v_mul_f64_e32 v[132:133], v[58:59], v[142:143]
	v_mul_f64_e32 v[58:59], v[58:59], v[140:141]
	s_delay_alu instid0(VALU_DEP_2) | instskip(NEXT) | instid1(VALU_DEP_2)
	v_fma_f64 v[165:166], v[56:57], v[140:141], v[132:133]
	v_fma_f64 v[167:168], v[56:57], v[142:143], -v[58:59]
	ds_load_b128 v[56:59], v208
	ds_load_b128 v[132:135], v208 offset:2816
	ds_load_b128 v[144:147], v208 offset:5632
	;; [unrolled: 1-line block ×3, first 2 shown]
	global_wb scope:SCOPE_SE
	s_wait_dscnt 0x0
	s_barrier_signal -1
	s_barrier_wait -1
	global_inv scope:SCOPE_SE
	v_add_f64_e64 v[140:141], v[56:57], -v[0:1]
	v_add_f64_e64 v[142:143], v[58:59], -v[2:3]
	s_delay_alu instid0(VALU_DEP_2) | instskip(NEXT) | instid1(VALU_DEP_2)
	v_fma_f64 v[56:57], v[56:57], 2.0, -v[140:141]
	v_fma_f64 v[58:59], v[58:59], 2.0, -v[142:143]
	ds_store_b128 v32, v[140:143] offset:32
	ds_store_b128 v32, v[56:59]
	v_add_f64_e64 v[56:57], v[132:133], -v[152:153]
	v_add_f64_e64 v[58:59], v[134:135], -v[154:155]
	s_delay_alu instid0(VALU_DEP_2) | instskip(NEXT) | instid1(VALU_DEP_2)
	v_fma_f64 v[132:133], v[132:133], 2.0, -v[56:57]
	v_fma_f64 v[134:135], v[134:135], 2.0, -v[58:59]
	ds_store_b128 v29, v[132:135]
	ds_store_b128 v29, v[56:59] offset:32
	v_add_f64_e64 v[56:57], v[144:145], -v[157:158]
	v_add_f64_e64 v[58:59], v[146:147], -v[159:160]
	s_delay_alu instid0(VALU_DEP_2) | instskip(NEXT) | instid1(VALU_DEP_2)
	v_fma_f64 v[132:133], v[144:145], 2.0, -v[56:57]
	v_fma_f64 v[134:135], v[146:147], 2.0, -v[58:59]
	ds_store_b128 v25, v[132:135]
	ds_store_b128 v25, v[56:59] offset:32
	;; [unrolled: 7-line block ×4, first 2 shown]
	global_wb scope:SCOPE_SE
	s_wait_dscnt 0x0
	s_barrier_signal -1
	s_barrier_wait -1
	global_inv scope:SCOPE_SE
	ds_load_b128 v[56:59], v208 offset:14080
	ds_load_b128 v[132:135], v208 offset:11264
	s_wait_dscnt 0x1
	v_mul_f64_e32 v[0:1], v[54:55], v[58:59]
	v_mul_f64_e32 v[2:3], v[54:55], v[56:57]
	s_delay_alu instid0(VALU_DEP_2) | instskip(NEXT) | instid1(VALU_DEP_2)
	v_fma_f64 v[0:1], v[52:53], v[56:57], v[0:1]
	v_fma_f64 v[2:3], v[52:53], v[58:59], -v[2:3]
	ds_load_b128 v[56:59], v208 offset:16896
	ds_load_b128 v[136:139], v208 offset:19712
	s_wait_dscnt 0x1
	v_mul_f64_e32 v[140:141], v[54:55], v[58:59]
	s_delay_alu instid0(VALU_DEP_1) | instskip(SKIP_1) | instid1(VALU_DEP_1)
	v_fma_f64 v[148:149], v[52:53], v[56:57], v[140:141]
	v_mul_f64_e32 v[56:57], v[54:55], v[56:57]
	v_fma_f64 v[150:151], v[52:53], v[58:59], -v[56:57]
	s_wait_dscnt 0x0
	v_mul_f64_e32 v[56:57], v[54:55], v[138:139]
	s_delay_alu instid0(VALU_DEP_1) | instskip(SKIP_1) | instid1(VALU_DEP_1)
	v_fma_f64 v[152:153], v[52:53], v[136:137], v[56:57]
	v_mul_f64_e32 v[56:57], v[54:55], v[136:137]
	v_fma_f64 v[154:155], v[52:53], v[138:139], -v[56:57]
	ds_load_b128 v[56:59], v208 offset:22528
	ds_load_b128 v[136:139], v208 offset:25344
	s_wait_dscnt 0x1
	v_mul_f64_e32 v[140:141], v[54:55], v[58:59]
	s_delay_alu instid0(VALU_DEP_1) | instskip(SKIP_1) | instid1(VALU_DEP_1)
	v_fma_f64 v[157:158], v[52:53], v[56:57], v[140:141]
	v_mul_f64_e32 v[56:57], v[54:55], v[56:57]
	v_fma_f64 v[159:160], v[52:53], v[58:59], -v[56:57]
	s_wait_dscnt 0x0
	v_mul_f64_e32 v[56:57], v[54:55], v[138:139]
	v_mul_f64_e32 v[54:55], v[54:55], v[136:137]
	s_delay_alu instid0(VALU_DEP_2) | instskip(NEXT) | instid1(VALU_DEP_2)
	v_fma_f64 v[161:162], v[52:53], v[136:137], v[56:57]
	v_fma_f64 v[163:164], v[52:53], v[138:139], -v[54:55]
	ds_load_b128 v[52:55], v208
	ds_load_b128 v[56:59], v208 offset:2816
	ds_load_b128 v[140:143], v208 offset:5632
	;; [unrolled: 1-line block ×3, first 2 shown]
	global_wb scope:SCOPE_SE
	s_wait_dscnt 0x0
	s_barrier_signal -1
	s_barrier_wait -1
	global_inv scope:SCOPE_SE
	v_add_f64_e64 v[136:137], v[52:53], -v[0:1]
	v_add_f64_e64 v[138:139], v[54:55], -v[2:3]
	s_delay_alu instid0(VALU_DEP_2) | instskip(NEXT) | instid1(VALU_DEP_2)
	v_fma_f64 v[52:53], v[52:53], 2.0, -v[136:137]
	v_fma_f64 v[54:55], v[54:55], 2.0, -v[138:139]
	ds_store_b128 v30, v[136:139] offset:64
	ds_store_b128 v30, v[52:55]
	v_add_f64_e64 v[52:53], v[56:57], -v[148:149]
	v_add_f64_e64 v[54:55], v[58:59], -v[150:151]
	s_delay_alu instid0(VALU_DEP_2) | instskip(NEXT) | instid1(VALU_DEP_2)
	v_fma_f64 v[56:57], v[56:57], 2.0, -v[52:53]
	v_fma_f64 v[58:59], v[58:59], 2.0, -v[54:55]
	ds_store_b128 v26, v[56:59]
	ds_store_b128 v26, v[52:55] offset:64
	v_add_f64_e64 v[52:53], v[140:141], -v[152:153]
	v_add_f64_e64 v[54:55], v[142:143], -v[154:155]
	s_delay_alu instid0(VALU_DEP_2) | instskip(NEXT) | instid1(VALU_DEP_2)
	v_fma_f64 v[56:57], v[140:141], 2.0, -v[52:53]
	v_fma_f64 v[58:59], v[142:143], 2.0, -v[54:55]
	ds_store_b128 v22, v[56:59]
	ds_store_b128 v22, v[52:55] offset:64
	;; [unrolled: 7-line block ×4, first 2 shown]
	global_wb scope:SCOPE_SE
	s_wait_dscnt 0x0
	s_barrier_signal -1
	s_barrier_wait -1
	global_inv scope:SCOPE_SE
	ds_load_b128 v[52:55], v208 offset:14080
	ds_load_b128 v[56:59], v208 offset:11264
	s_wait_dscnt 0x1
	v_mul_f64_e32 v[0:1], v[50:51], v[54:55]
	v_mul_f64_e32 v[2:3], v[50:51], v[52:53]
	s_delay_alu instid0(VALU_DEP_2) | instskip(NEXT) | instid1(VALU_DEP_2)
	v_fma_f64 v[0:1], v[48:49], v[52:53], v[0:1]
	v_fma_f64 v[2:3], v[48:49], v[54:55], -v[2:3]
	ds_load_b128 v[52:55], v208 offset:16896
	ds_load_b128 v[132:135], v208 offset:19712
	s_wait_dscnt 0x1
	v_mul_f64_e32 v[136:137], v[50:51], v[54:55]
	s_delay_alu instid0(VALU_DEP_1) | instskip(SKIP_1) | instid1(VALU_DEP_1)
	v_fma_f64 v[144:145], v[48:49], v[52:53], v[136:137]
	v_mul_f64_e32 v[52:53], v[50:51], v[52:53]
	v_fma_f64 v[146:147], v[48:49], v[54:55], -v[52:53]
	s_wait_dscnt 0x0
	v_mul_f64_e32 v[52:53], v[50:51], v[134:135]
	s_delay_alu instid0(VALU_DEP_1) | instskip(SKIP_1) | instid1(VALU_DEP_1)
	v_fma_f64 v[148:149], v[48:49], v[132:133], v[52:53]
	v_mul_f64_e32 v[52:53], v[50:51], v[132:133]
	v_fma_f64 v[150:151], v[48:49], v[134:135], -v[52:53]
	ds_load_b128 v[52:55], v208 offset:22528
	ds_load_b128 v[132:135], v208 offset:25344
	s_wait_dscnt 0x1
	v_mul_f64_e32 v[136:137], v[50:51], v[54:55]
	s_delay_alu instid0(VALU_DEP_1) | instskip(SKIP_1) | instid1(VALU_DEP_1)
	v_fma_f64 v[152:153], v[48:49], v[52:53], v[136:137]
	v_mul_f64_e32 v[52:53], v[50:51], v[52:53]
	v_fma_f64 v[154:155], v[48:49], v[54:55], -v[52:53]
	s_wait_dscnt 0x0
	v_mul_f64_e32 v[52:53], v[50:51], v[134:135]
	v_mul_f64_e32 v[50:51], v[50:51], v[132:133]
	s_delay_alu instid0(VALU_DEP_2) | instskip(NEXT) | instid1(VALU_DEP_2)
	v_fma_f64 v[157:158], v[48:49], v[132:133], v[52:53]
	v_fma_f64 v[159:160], v[48:49], v[134:135], -v[50:51]
	ds_load_b128 v[48:51], v208
	ds_load_b128 v[52:55], v208 offset:2816
	ds_load_b128 v[136:139], v208 offset:5632
	ds_load_b128 v[140:143], v208 offset:8448
	global_wb scope:SCOPE_SE
	s_wait_dscnt 0x0
	s_barrier_signal -1
	s_barrier_wait -1
	global_inv scope:SCOPE_SE
	v_add_f64_e64 v[132:133], v[48:49], -v[0:1]
	v_add_f64_e64 v[134:135], v[50:51], -v[2:3]
	s_delay_alu instid0(VALU_DEP_2) | instskip(NEXT) | instid1(VALU_DEP_2)
	v_fma_f64 v[48:49], v[48:49], 2.0, -v[132:133]
	v_fma_f64 v[50:51], v[50:51], 2.0, -v[134:135]
	ds_store_b128 v27, v[132:135] offset:128
	ds_store_b128 v27, v[48:51]
	v_add_f64_e64 v[48:49], v[52:53], -v[144:145]
	v_add_f64_e64 v[50:51], v[54:55], -v[146:147]
	s_delay_alu instid0(VALU_DEP_2) | instskip(NEXT) | instid1(VALU_DEP_2)
	v_fma_f64 v[52:53], v[52:53], 2.0, -v[48:49]
	v_fma_f64 v[54:55], v[54:55], 2.0, -v[50:51]
	ds_store_b128 v23, v[52:55]
	ds_store_b128 v23, v[48:51] offset:128
	v_add_f64_e64 v[48:49], v[136:137], -v[148:149]
	v_add_f64_e64 v[50:51], v[138:139], -v[150:151]
	s_delay_alu instid0(VALU_DEP_2) | instskip(NEXT) | instid1(VALU_DEP_2)
	v_fma_f64 v[52:53], v[136:137], 2.0, -v[48:49]
	v_fma_f64 v[54:55], v[138:139], 2.0, -v[50:51]
	ds_store_b128 v19, v[52:55]
	ds_store_b128 v19, v[48:51] offset:128
	;; [unrolled: 7-line block ×4, first 2 shown]
	global_wb scope:SCOPE_SE
	s_wait_dscnt 0x0
	s_barrier_signal -1
	s_barrier_wait -1
	global_inv scope:SCOPE_SE
	ds_load_b128 v[48:51], v208 offset:14080
	ds_load_b128 v[152:155], v208 offset:11264
	s_wait_dscnt 0x1
	v_mul_f64_e32 v[0:1], v[42:43], v[50:51]
	v_mul_f64_e32 v[2:3], v[42:43], v[48:49]
	s_delay_alu instid0(VALU_DEP_2) | instskip(NEXT) | instid1(VALU_DEP_2)
	v_fma_f64 v[0:1], v[40:41], v[48:49], v[0:1]
	v_fma_f64 v[2:3], v[40:41], v[50:51], -v[2:3]
	ds_load_b128 v[48:51], v208 offset:16896
	ds_load_b128 v[52:55], v208 offset:19712
	s_wait_dscnt 0x1
	v_mul_f64_e32 v[56:57], v[42:43], v[50:51]
	s_delay_alu instid0(VALU_DEP_1) | instskip(SKIP_1) | instid1(VALU_DEP_1)
	v_fma_f64 v[132:133], v[40:41], v[48:49], v[56:57]
	v_mul_f64_e32 v[48:49], v[42:43], v[48:49]
	v_fma_f64 v[134:135], v[40:41], v[50:51], -v[48:49]
	s_wait_dscnt 0x0
	v_mul_f64_e32 v[48:49], v[42:43], v[54:55]
	s_delay_alu instid0(VALU_DEP_1) | instskip(SKIP_1) | instid1(VALU_DEP_1)
	v_fma_f64 v[136:137], v[40:41], v[52:53], v[48:49]
	v_mul_f64_e32 v[48:49], v[42:43], v[52:53]
	v_fma_f64 v[138:139], v[40:41], v[54:55], -v[48:49]
	ds_load_b128 v[48:51], v208 offset:22528
	ds_load_b128 v[52:55], v208 offset:25344
	s_wait_dscnt 0x1
	v_mul_f64_e32 v[56:57], v[42:43], v[50:51]
	s_delay_alu instid0(VALU_DEP_1) | instskip(SKIP_1) | instid1(VALU_DEP_1)
	v_fma_f64 v[140:141], v[40:41], v[48:49], v[56:57]
	v_mul_f64_e32 v[48:49], v[42:43], v[48:49]
	v_fma_f64 v[142:143], v[40:41], v[50:51], -v[48:49]
	s_wait_dscnt 0x0
	v_mul_f64_e32 v[48:49], v[42:43], v[54:55]
	v_mul_f64_e32 v[42:43], v[42:43], v[52:53]
	s_delay_alu instid0(VALU_DEP_2) | instskip(NEXT) | instid1(VALU_DEP_2)
	v_fma_f64 v[148:149], v[40:41], v[52:53], v[48:49]
	v_fma_f64 v[150:151], v[40:41], v[54:55], -v[42:43]
	ds_load_b128 v[40:43], v208
	ds_load_b128 v[48:51], v208 offset:2816
	s_wait_dscnt 0x1
	v_add_f64_e64 v[56:57], v[40:41], -v[0:1]
	s_wait_dscnt 0x0
	v_add_f64_e64 v[52:53], v[48:49], -v[132:133]
	v_add_f64_e64 v[54:55], v[50:51], -v[134:135]
	ds_load_b128 v[132:135], v208 offset:5632
	ds_load_b128 v[144:147], v208 offset:8448
	v_add_f64_e64 v[58:59], v[42:43], -v[2:3]
	global_wb scope:SCOPE_SE
	s_wait_dscnt 0x0
	s_barrier_signal -1
	s_barrier_wait -1
	global_inv scope:SCOPE_SE
	v_add_f64_e64 v[148:149], v[152:153], -v[148:149]
	v_add_f64_e64 v[150:151], v[154:155], -v[150:151]
	;; [unrolled: 1-line block ×6, first 2 shown]
	v_fma_f64 v[40:41], v[40:41], 2.0, -v[56:57]
	v_fma_f64 v[48:49], v[48:49], 2.0, -v[52:53]
	v_fma_f64 v[50:51], v[50:51], 2.0, -v[54:55]
	v_fma_f64 v[42:43], v[42:43], 2.0, -v[58:59]
	v_fma_f64 v[152:153], v[152:153], 2.0, -v[148:149]
	v_fma_f64 v[154:155], v[154:155], 2.0, -v[150:151]
	v_fma_f64 v[132:133], v[132:133], 2.0, -v[136:137]
	v_fma_f64 v[134:135], v[134:135], 2.0, -v[138:139]
	v_fma_f64 v[144:145], v[144:145], 2.0, -v[140:141]
	v_fma_f64 v[146:147], v[146:147], 2.0, -v[142:143]
	ds_store_b128 v63, v[56:59] offset:256
	ds_store_b128 v63, v[40:43]
	ds_store_b128 v255, v[48:51]
	ds_store_b128 v255, v[52:55] offset:256
	ds_store_b128 v10, v[132:135]
	ds_store_b128 v10, v[136:139] offset:256
	;; [unrolled: 2-line block ×4, first 2 shown]
	global_wb scope:SCOPE_SE
	s_wait_dscnt 0x0
	s_barrier_signal -1
	s_barrier_wait -1
	global_inv scope:SCOPE_SE
	s_and_saveexec_b32 s2, vcc_lo
	s_cbranch_execz .LBB0_7
; %bb.6:
	ds_load_b128 v[40:43], v208
	ds_load_b128 v[56:59], v208 offset:2560
	ds_load_b128 v[48:51], v208 offset:5120
	;; [unrolled: 1-line block ×10, first 2 shown]
.LBB0_7:
	s_wait_alu 0xfffe
	s_or_b32 exec_lo, exec_lo, s2
	global_wb scope:SCOPE_SE
	s_wait_dscnt 0x0
	s_barrier_signal -1
	s_barrier_wait -1
	global_inv scope:SCOPE_SE
	s_and_saveexec_b32 s30, vcc_lo
	s_cbranch_execz .LBB0_9
; %bb.8:
	v_mul_f64_e32 v[0:1], v[46:47], v[56:57]
	s_mov_b32 s25, 0x3fed1bb4
	s_mov_b32 s24, 0x8eee2c13
	;; [unrolled: 1-line block ×11, first 2 shown]
	s_wait_alu 0xfffe
	s_mov_b32 s26, s16
	s_mov_b32 s2, 0x640f44db
	;; [unrolled: 1-line block ×15, first 2 shown]
	s_delay_alu instid0(VALU_DEP_1) | instskip(SKIP_1) | instid1(VALU_DEP_1)
	v_fma_f64 v[157:158], v[44:45], v[58:59], -v[0:1]
	v_mul_f64_e32 v[0:1], v[46:47], v[58:59]
	v_fma_f64 v[159:160], v[44:45], v[56:57], v[0:1]
	v_mul_f64_e32 v[0:1], v[94:95], v[138:139]
	s_delay_alu instid0(VALU_DEP_1) | instskip(SKIP_1) | instid1(VALU_DEP_1)
	v_fma_f64 v[44:45], v[92:93], v[136:137], v[0:1]
	v_mul_f64_e32 v[0:1], v[94:95], v[136:137]
	v_fma_f64 v[56:57], v[92:93], v[138:139], -v[0:1]
	v_mul_f64_e32 v[0:1], v[90:91], v[146:147]
	s_delay_alu instid0(VALU_DEP_1) | instskip(SKIP_1) | instid1(VALU_DEP_2)
	v_fma_f64 v[46:47], v[88:89], v[144:145], v[0:1]
	v_mul_f64_e32 v[0:1], v[90:91], v[144:145]
	v_add_f64_e64 v[62:63], v[44:45], -v[46:47]
	s_delay_alu instid0(VALU_DEP_2) | instskip(SKIP_2) | instid1(VALU_DEP_4)
	v_fma_f64 v[58:59], v[88:89], v[146:147], -v[0:1]
	v_mul_f64_e32 v[0:1], v[86:87], v[134:135]
	v_add_f64_e32 v[203:204], v[44:45], v[46:47]
	v_mul_f64_e32 v[128:129], s[24:25], v[62:63]
	s_delay_alu instid0(VALU_DEP_4) | instskip(NEXT) | instid1(VALU_DEP_4)
	v_add_f64_e32 v[199:200], v[56:57], v[58:59]
	v_fma_f64 v[88:89], v[84:85], v[132:133], v[0:1]
	v_mul_f64_e32 v[0:1], v[86:87], v[132:133]
	v_mul_f64_e32 v[201:202], s[20:21], v[62:63]
	s_delay_alu instid0(VALU_DEP_2) | instskip(SKIP_1) | instid1(VALU_DEP_1)
	v_fma_f64 v[86:87], v[84:85], v[134:135], -v[0:1]
	v_mul_f64_e32 v[0:1], v[82:83], v[142:143]
	v_fma_f64 v[84:85], v[80:81], v[140:141], v[0:1]
	v_mul_f64_e32 v[0:1], v[82:83], v[140:141]
	s_delay_alu instid0(VALU_DEP_1) | instskip(SKIP_1) | instid1(VALU_DEP_2)
	v_fma_f64 v[80:81], v[80:81], v[142:143], -v[0:1]
	v_mul_f64_e32 v[0:1], v[78:79], v[54:55]
	v_add_f64_e64 v[2:3], v[86:87], -v[80:81]
	s_delay_alu instid0(VALU_DEP_2) | instskip(SKIP_1) | instid1(VALU_DEP_1)
	v_fma_f64 v[82:83], v[76:77], v[52:53], v[0:1]
	v_mul_f64_e32 v[0:1], v[78:79], v[52:53]
	v_fma_f64 v[76:77], v[76:77], v[54:55], -v[0:1]
	v_mul_f64_e32 v[0:1], v[74:75], v[154:155]
	s_delay_alu instid0(VALU_DEP_1) | instskip(SKIP_2) | instid1(VALU_DEP_3)
	v_fma_f64 v[52:53], v[72:73], v[152:153], v[0:1]
	v_mul_f64_e32 v[0:1], v[74:75], v[152:153]
	v_add_f64_e64 v[74:75], v[56:57], -v[58:59]
	v_add_f64_e64 v[78:79], v[82:83], -v[52:53]
	s_delay_alu instid0(VALU_DEP_3) | instskip(SKIP_1) | instid1(VALU_DEP_4)
	v_fma_f64 v[54:55], v[72:73], v[154:155], -v[0:1]
	v_mul_f64_e32 v[0:1], v[66:67], v[50:51]
	v_mul_f64_e32 v[130:131], s[24:25], v[74:75]
	;; [unrolled: 1-line block ×4, first 2 shown]
	v_add_f64_e64 v[94:95], v[76:77], -v[54:55]
	v_fma_f64 v[72:73], v[64:65], v[48:49], v[0:1]
	v_mul_f64_e32 v[0:1], v[66:67], v[48:49]
	s_delay_alu instid0(VALU_DEP_3) | instskip(SKIP_1) | instid1(VALU_DEP_3)
	v_mul_f64_e32 v[138:139], s[24:25], v[94:95]
	v_mul_f64_e32 v[191:192], s[18:19], v[94:95]
	v_fma_f64 v[66:67], v[64:65], v[50:51], -v[0:1]
	v_mul_f64_e32 v[0:1], v[70:71], v[150:151]
	s_delay_alu instid0(VALU_DEP_1) | instskip(SKIP_2) | instid1(VALU_DEP_3)
	v_fma_f64 v[48:49], v[68:69], v[148:149], v[0:1]
	v_mul_f64_e32 v[0:1], v[70:71], v[148:149]
	v_mul_f64_e32 v[70:71], s[24:25], v[2:3]
	v_add_f64_e64 v[183:184], v[72:73], -v[48:49]
	s_delay_alu instid0(VALU_DEP_3) | instskip(SKIP_2) | instid1(VALU_DEP_3)
	v_fma_f64 v[64:65], v[68:69], v[150:151], -v[0:1]
	v_mul_f64_e32 v[0:1], v[14:15], v[35:36]
	v_add_f64_e32 v[187:188], v[72:73], v[48:49]
	v_add_f64_e32 v[185:186], v[66:67], v[64:65]
	s_delay_alu instid0(VALU_DEP_3) | instskip(SKIP_1) | instid1(VALU_DEP_2)
	v_fma_f64 v[50:51], v[12:13], v[33:34], v[0:1]
	v_mul_f64_e32 v[0:1], v[14:15], v[33:34]
	v_add_f64_e64 v[90:91], v[159:160], -v[50:51]
	s_delay_alu instid0(VALU_DEP_2)
	v_fma_f64 v[60:61], v[12:13], v[35:36], -v[0:1]
	v_add_f64_e64 v[0:1], v[88:89], -v[84:85]
	v_add_f64_e32 v[167:168], v[159:160], v[50:51]
	v_add_f64_e32 v[159:160], v[40:41], v[159:160]
	v_mul_f64_e32 v[92:93], s[22:23], v[90:91]
	v_mul_f64_e32 v[132:133], s[18:19], v[90:91]
	;; [unrolled: 1-line block ×3, first 2 shown]
	s_mov_b32 s25, 0xbfed1bb4
	v_mul_f64_e32 v[134:135], s[20:21], v[90:91]
	s_wait_alu 0xfffe
	v_mul_f64_e32 v[140:141], s[26:27], v[90:91]
	v_mul_f64_e32 v[90:91], s[24:25], v[90:91]
	v_add_f64_e32 v[142:143], v[157:158], v[60:61]
	s_delay_alu instid0(VALU_DEP_1)
	v_fma_f64 v[144:145], v[142:143], s[12:13], v[92:93]
	v_fma_f64 v[92:93], v[142:143], s[12:13], -v[92:93]
	v_fma_f64 v[146:147], v[142:143], s[10:11], v[132:133]
	v_fma_f64 v[132:133], v[142:143], s[10:11], -v[132:133]
	;; [unrolled: 2-line block ×4, first 2 shown]
	v_fma_f64 v[152:153], v[142:143], s[8:9], -v[90:91]
	v_fma_f64 v[90:91], v[142:143], s[8:9], v[90:91]
	v_add_f64_e64 v[142:143], v[157:158], -v[60:61]
	v_add_f64_e32 v[157:158], v[42:43], v[157:158]
	v_add_f64_e32 v[144:145], v[42:43], v[144:145]
	;; [unrolled: 1-line block ×9, first 2 shown]
	v_mul_f64_e32 v[154:155], s[22:23], v[142:143]
	v_mul_f64_e32 v[161:162], s[18:19], v[142:143]
	;; [unrolled: 1-line block ×5, first 2 shown]
	v_fma_f64 v[169:170], v[167:168], s[12:13], -v[154:155]
	v_fma_f64 v[154:155], v[167:168], s[12:13], v[154:155]
	v_fma_f64 v[171:172], v[167:168], s[10:11], -v[161:162]
	v_fma_f64 v[175:176], v[167:168], s[14:15], v[165:166]
	v_fma_f64 v[177:178], v[167:168], s[8:9], v[142:143]
	;; [unrolled: 1-line block ×3, first 2 shown]
	v_fma_f64 v[173:174], v[167:168], s[2:3], -v[163:164]
	v_fma_f64 v[163:164], v[167:168], s[2:3], v[163:164]
	v_fma_f64 v[165:166], v[167:168], s[14:15], -v[165:166]
	v_fma_f64 v[142:143], v[167:168], s[8:9], -v[142:143]
	v_add_f64_e32 v[167:168], v[40:41], v[169:170]
	v_add_f64_e32 v[154:155], v[40:41], v[154:155]
	;; [unrolled: 1-line block ×6, first 2 shown]
	v_mul_f64_e32 v[90:91], s[16:17], v[183:184]
	v_add_f64_e32 v[161:162], v[40:41], v[161:162]
	v_add_f64_e32 v[171:172], v[40:41], v[173:174]
	;; [unrolled: 1-line block ×6, first 2 shown]
	v_mul_f64_e32 v[142:143], s[18:19], v[78:79]
	v_fma_f64 v[40:41], v[185:186], s[14:15], v[90:91]
	v_fma_f64 v[90:91], v[185:186], s[14:15], -v[90:91]
	s_delay_alu instid0(VALU_DEP_2) | instskip(SKIP_1) | instid1(VALU_DEP_3)
	v_add_f64_e32 v[40:41], v[40:41], v[144:145]
	v_add_f64_e64 v[144:145], v[66:67], -v[64:65]
	v_add_f64_e32 v[90:91], v[90:91], v[92:93]
	s_delay_alu instid0(VALU_DEP_2) | instskip(NEXT) | instid1(VALU_DEP_1)
	v_mul_f64_e32 v[134:135], s[16:17], v[144:145]
	v_fma_f64 v[42:43], v[187:188], s[14:15], -v[134:135]
	v_fma_f64 v[92:93], v[187:188], s[14:15], v[134:135]
	s_delay_alu instid0(VALU_DEP_2) | instskip(SKIP_1) | instid1(VALU_DEP_3)
	v_add_f64_e32 v[42:43], v[42:43], v[167:168]
	v_add_f64_e32 v[167:168], v[76:77], v[54:55]
	;; [unrolled: 1-line block ×3, first 2 shown]
	s_delay_alu instid0(VALU_DEP_2) | instskip(SKIP_2) | instid1(VALU_DEP_3)
	v_fma_f64 v[189:190], v[167:168], s[10:11], v[142:143]
	v_fma_f64 v[134:135], v[167:168], s[10:11], -v[142:143]
	v_mul_f64_e32 v[142:143], s[28:29], v[144:145]
	v_add_f64_e32 v[40:41], v[189:190], v[40:41]
	v_add_f64_e32 v[189:190], v[82:83], v[52:53]
	s_delay_alu instid0(VALU_DEP_4) | instskip(NEXT) | instid1(VALU_DEP_2)
	v_add_f64_e32 v[90:91], v[134:135], v[90:91]
	v_fma_f64 v[193:194], v[189:190], s[10:11], -v[191:192]
	v_fma_f64 v[134:135], v[189:190], s[10:11], v[191:192]
	s_delay_alu instid0(VALU_DEP_2) | instskip(SKIP_1) | instid1(VALU_DEP_3)
	v_add_f64_e32 v[42:43], v[193:194], v[42:43]
	v_add_f64_e32 v[193:194], v[86:87], v[80:81]
	;; [unrolled: 1-line block ×3, first 2 shown]
	v_mul_f64_e32 v[134:135], s[28:29], v[183:184]
	s_delay_alu instid0(VALU_DEP_3) | instskip(SKIP_1) | instid1(VALU_DEP_2)
	v_fma_f64 v[195:196], v[193:194], s[8:9], v[68:69]
	v_fma_f64 v[68:69], v[193:194], s[8:9], -v[68:69]
	v_add_f64_e32 v[40:41], v[195:196], v[40:41]
	v_add_f64_e32 v[195:196], v[88:89], v[84:85]
	s_delay_alu instid0(VALU_DEP_3) | instskip(NEXT) | instid1(VALU_DEP_2)
	v_add_f64_e32 v[68:69], v[68:69], v[90:91]
	v_fma_f64 v[197:198], v[195:196], s[8:9], -v[70:71]
	v_fma_f64 v[70:71], v[195:196], s[8:9], v[70:71]
	s_delay_alu instid0(VALU_DEP_2) | instskip(NEXT) | instid1(VALU_DEP_2)
	v_add_f64_e32 v[197:198], v[197:198], v[42:43]
	v_add_f64_e32 v[90:91], v[70:71], v[92:93]
	v_fma_f64 v[70:71], v[199:200], s[2:3], -v[201:202]
	v_fma_f64 v[92:93], v[203:204], s[2:3], v[205:206]
	v_fma_f64 v[42:43], v[199:200], s[2:3], v[201:202]
	s_delay_alu instid0(VALU_DEP_3) | instskip(NEXT) | instid1(VALU_DEP_3)
	v_add_f64_e32 v[70:71], v[70:71], v[68:69]
	v_add_f64_e32 v[68:69], v[92:93], v[90:91]
	v_fma_f64 v[90:91], v[185:186], s[2:3], v[134:135]
	v_fma_f64 v[92:93], v[187:188], s[2:3], -v[142:143]
	v_fma_f64 v[134:135], v[185:186], s[2:3], -v[134:135]
	v_add_f64_e32 v[42:43], v[42:43], v[40:41]
	v_fma_f64 v[40:41], v[203:204], s[2:3], -v[205:206]
	v_add_f64_e32 v[90:91], v[90:91], v[146:147]
	v_mul_f64_e32 v[146:147], s[26:27], v[78:79]
	v_add_f64_e32 v[92:93], v[92:93], v[169:170]
	v_add_f64_e32 v[132:133], v[134:135], v[132:133]
	v_fma_f64 v[134:135], v[187:188], s[2:3], v[142:143]
	v_add_f64_e32 v[40:41], v[40:41], v[197:198]
	v_fma_f64 v[154:155], v[167:168], s[14:15], v[146:147]
	v_fma_f64 v[142:143], v[167:168], s[14:15], -v[146:147]
	v_mul_f64_e32 v[146:147], s[34:35], v[144:145]
	v_add_f64_e32 v[134:135], v[134:135], v[161:162]
	s_delay_alu instid0(VALU_DEP_4) | instskip(SKIP_2) | instid1(VALU_DEP_2)
	v_add_f64_e32 v[90:91], v[154:155], v[90:91]
	v_mul_f64_e32 v[154:155], s[26:27], v[94:95]
	v_add_f64_e32 v[132:133], v[142:143], v[132:133]
	v_fma_f64 v[169:170], v[189:190], s[14:15], -v[154:155]
	v_fma_f64 v[142:143], v[189:190], s[14:15], v[154:155]
	s_delay_alu instid0(VALU_DEP_2) | instskip(SKIP_1) | instid1(VALU_DEP_3)
	v_add_f64_e32 v[92:93], v[169:170], v[92:93]
	v_mul_f64_e32 v[169:170], s[22:23], v[0:1]
	v_add_f64_e32 v[134:135], v[142:143], v[134:135]
	s_delay_alu instid0(VALU_DEP_2) | instskip(SKIP_2) | instid1(VALU_DEP_3)
	v_fma_f64 v[191:192], v[193:194], s[12:13], v[169:170]
	v_fma_f64 v[142:143], v[193:194], s[12:13], -v[169:170]
	v_mul_f64_e32 v[169:170], s[18:19], v[62:63]
	v_add_f64_e32 v[90:91], v[191:192], v[90:91]
	v_mul_f64_e32 v[191:192], s[22:23], v[2:3]
	s_delay_alu instid0(VALU_DEP_4) | instskip(NEXT) | instid1(VALU_DEP_2)
	v_add_f64_e32 v[132:133], v[142:143], v[132:133]
	v_fma_f64 v[197:198], v[195:196], s[12:13], -v[191:192]
	v_fma_f64 v[142:143], v[195:196], s[12:13], v[191:192]
	v_mul_f64_e32 v[191:192], s[22:23], v[62:63]
	v_mul_f64_e32 v[62:63], s[16:17], v[62:63]
	s_delay_alu instid0(VALU_DEP_4) | instskip(SKIP_4) | instid1(VALU_DEP_4)
	v_add_f64_e32 v[197:198], v[197:198], v[92:93]
	v_fma_f64 v[92:93], v[199:200], s[8:9], v[128:129]
	v_add_f64_e32 v[134:135], v[142:143], v[134:135]
	v_fma_f64 v[128:129], v[199:200], s[8:9], -v[128:129]
	v_fma_f64 v[142:143], v[203:204], s[8:9], v[130:131]
	v_add_f64_e32 v[92:93], v[92:93], v[90:91]
	v_fma_f64 v[90:91], v[203:204], s[8:9], -v[130:131]
	s_delay_alu instid0(VALU_DEP_4) | instskip(NEXT) | instid1(VALU_DEP_4)
	v_add_f64_e32 v[130:131], v[128:129], v[132:133]
	v_add_f64_e32 v[128:129], v[142:143], v[134:135]
	v_mul_f64_e32 v[142:143], s[34:35], v[183:184]
	v_fma_f64 v[134:135], v[187:188], s[12:13], -v[146:147]
	v_fma_f64 v[146:147], v[187:188], s[12:13], v[146:147]
	v_add_f64_e32 v[90:91], v[90:91], v[197:198]
	v_mul_f64_e32 v[197:198], s[22:23], v[74:75]
	v_fma_f64 v[132:133], v[185:186], s[12:13], v[142:143]
	v_add_f64_e32 v[134:135], v[134:135], v[171:172]
	v_fma_f64 v[142:143], v[185:186], s[12:13], -v[142:143]
	v_add_f64_e32 v[146:147], v[146:147], v[163:164]
	v_mul_f64_e32 v[171:172], s[18:19], v[74:75]
	v_mul_f64_e32 v[163:164], s[20:21], v[78:79]
	;; [unrolled: 1-line block ×4, first 2 shown]
	v_add_f64_e32 v[132:133], v[132:133], v[148:149]
	v_fma_f64 v[148:149], v[167:168], s[8:9], v[136:137]
	v_add_f64_e32 v[142:143], v[142:143], v[173:174]
	v_fma_f64 v[136:137], v[167:168], s[8:9], -v[136:137]
	v_mul_f64_e32 v[173:174], s[18:19], v[2:3]
	s_delay_alu instid0(VALU_DEP_4) | instskip(SKIP_1) | instid1(VALU_DEP_4)
	v_add_f64_e32 v[132:133], v[148:149], v[132:133]
	v_fma_f64 v[148:149], v[189:190], s[8:9], -v[138:139]
	v_add_f64_e32 v[136:137], v[136:137], v[142:143]
	v_fma_f64 v[138:139], v[189:190], s[8:9], v[138:139]
	s_delay_alu instid0(VALU_DEP_3) | instskip(SKIP_1) | instid1(VALU_DEP_3)
	v_add_f64_e32 v[134:135], v[148:149], v[134:135]
	v_mul_f64_e32 v[148:149], s[26:27], v[0:1]
	v_add_f64_e32 v[138:139], v[138:139], v[146:147]
	v_fma_f64 v[146:147], v[203:204], s[10:11], v[171:172]
	s_delay_alu instid0(VALU_DEP_3) | instskip(SKIP_2) | instid1(VALU_DEP_3)
	v_fma_f64 v[154:155], v[193:194], s[14:15], v[148:149]
	v_fma_f64 v[142:143], v[193:194], s[14:15], -v[148:149]
	v_mul_f64_e32 v[148:149], s[18:19], v[183:184]
	v_add_f64_e32 v[132:133], v[154:155], v[132:133]
	v_mul_f64_e32 v[154:155], s[26:27], v[2:3]
	s_delay_alu instid0(VALU_DEP_4) | instskip(SKIP_1) | instid1(VALU_DEP_3)
	v_add_f64_e32 v[136:137], v[142:143], v[136:137]
	v_mul_f64_e32 v[2:3], s[28:29], v[2:3]
	v_fma_f64 v[161:162], v[195:196], s[14:15], -v[154:155]
	v_fma_f64 v[142:143], v[195:196], s[14:15], v[154:155]
	v_mul_f64_e32 v[154:155], s[24:25], v[183:184]
	s_delay_alu instid0(VALU_DEP_3) | instskip(SKIP_1) | instid1(VALU_DEP_4)
	v_add_f64_e32 v[161:162], v[161:162], v[134:135]
	v_fma_f64 v[134:135], v[199:200], s[10:11], v[169:170]
	v_add_f64_e32 v[142:143], v[142:143], v[138:139]
	v_fma_f64 v[138:139], v[199:200], s[10:11], -v[169:170]
	v_mul_f64_e32 v[169:170], s[20:21], v[94:95]
	v_mul_f64_e32 v[94:95], s[34:35], v[94:95]
	v_add_f64_e32 v[134:135], v[134:135], v[132:133]
	v_fma_f64 v[132:133], v[203:204], s[10:11], -v[171:172]
	v_add_f64_e32 v[138:139], v[138:139], v[136:137]
	v_add_f64_e32 v[136:137], v[146:147], v[142:143]
	v_fma_f64 v[142:143], v[185:186], s[8:9], -v[154:155]
	v_fma_f64 v[146:147], v[167:168], s[2:3], -v[163:164]
	v_mul_f64_e32 v[171:172], s[18:19], v[0:1]
	v_mul_f64_e32 v[0:1], s[28:29], v[0:1]
	v_add_f64_e32 v[132:133], v[132:133], v[161:162]
	v_mul_f64_e32 v[161:162], s[24:25], v[144:145]
	v_add_f64_e32 v[140:141], v[142:143], v[140:141]
	s_delay_alu instid0(VALU_DEP_2) | instskip(NEXT) | instid1(VALU_DEP_2)
	v_fma_f64 v[142:143], v[187:188], s[8:9], v[161:162]
	v_add_f64_e32 v[140:141], v[146:147], v[140:141]
	v_fma_f64 v[146:147], v[189:190], s[2:3], v[169:170]
	s_delay_alu instid0(VALU_DEP_3) | instskip(SKIP_1) | instid1(VALU_DEP_2)
	v_add_f64_e32 v[142:143], v[142:143], v[150:151]
	v_mul_f64_e32 v[150:151], s[18:19], v[144:145]
	v_add_f64_e32 v[142:143], v[146:147], v[142:143]
	v_fma_f64 v[146:147], v[193:194], s[10:11], -v[171:172]
	s_delay_alu instid0(VALU_DEP_3) | instskip(SKIP_1) | instid1(VALU_DEP_3)
	v_fma_f64 v[144:145], v[187:188], s[10:11], v[150:151]
	v_fma_f64 v[150:151], v[187:188], s[10:11], -v[150:151]
	v_add_f64_e32 v[140:141], v[146:147], v[140:141]
	v_fma_f64 v[146:147], v[195:196], s[10:11], v[173:174]
	s_delay_alu instid0(VALU_DEP_4) | instskip(NEXT) | instid1(VALU_DEP_4)
	v_add_f64_e32 v[144:145], v[144:145], v[175:176]
	v_add_f64_e32 v[150:151], v[150:151], v[181:182]
	s_delay_alu instid0(VALU_DEP_3) | instskip(SKIP_1) | instid1(VALU_DEP_1)
	v_add_f64_e32 v[146:147], v[146:147], v[142:143]
	v_fma_f64 v[142:143], v[199:200], s[12:13], -v[191:192]
	v_add_f64_e32 v[142:143], v[142:143], v[140:141]
	v_fma_f64 v[140:141], v[203:204], s[12:13], v[197:198]
	s_delay_alu instid0(VALU_DEP_1) | instskip(SKIP_2) | instid1(VALU_DEP_2)
	v_add_f64_e32 v[140:141], v[140:141], v[146:147]
	v_fma_f64 v[146:147], v[185:186], s[10:11], -v[148:149]
	v_fma_f64 v[148:149], v[185:186], s[10:11], v[148:149]
	v_add_f64_e32 v[146:147], v[146:147], v[152:153]
	v_fma_f64 v[152:153], v[167:168], s[12:13], -v[78:79]
	s_delay_alu instid0(VALU_DEP_3) | instskip(SKIP_1) | instid1(VALU_DEP_3)
	v_add_f64_e32 v[148:149], v[148:149], v[177:178]
	v_fma_f64 v[78:79], v[167:168], s[12:13], v[78:79]
	v_add_f64_e32 v[146:147], v[152:153], v[146:147]
	v_fma_f64 v[152:153], v[189:190], s[12:13], v[94:95]
	v_fma_f64 v[94:95], v[189:190], s[12:13], -v[94:95]
	s_delay_alu instid0(VALU_DEP_4) | instskip(NEXT) | instid1(VALU_DEP_3)
	v_add_f64_e32 v[78:79], v[78:79], v[148:149]
	v_add_f64_e32 v[144:145], v[152:153], v[144:145]
	v_fma_f64 v[152:153], v[193:194], s[2:3], -v[0:1]
	s_delay_alu instid0(VALU_DEP_4) | instskip(SKIP_1) | instid1(VALU_DEP_3)
	v_add_f64_e32 v[94:95], v[94:95], v[150:151]
	v_fma_f64 v[0:1], v[193:194], s[2:3], v[0:1]
	v_add_f64_e32 v[146:147], v[152:153], v[146:147]
	v_fma_f64 v[152:153], v[195:196], s[2:3], v[2:3]
	v_fma_f64 v[2:3], v[195:196], s[2:3], -v[2:3]
	s_delay_alu instid0(VALU_DEP_4) | instskip(NEXT) | instid1(VALU_DEP_3)
	v_add_f64_e32 v[0:1], v[0:1], v[78:79]
	v_add_f64_e32 v[144:145], v[152:153], v[144:145]
	v_fma_f64 v[152:153], v[199:200], s[14:15], -v[62:63]
	s_delay_alu instid0(VALU_DEP_4) | instskip(SKIP_1) | instid1(VALU_DEP_3)
	v_add_f64_e32 v[2:3], v[2:3], v[94:95]
	v_fma_f64 v[62:63], v[199:200], s[14:15], v[62:63]
	v_add_f64_e32 v[146:147], v[152:153], v[146:147]
	v_fma_f64 v[152:153], v[203:204], s[14:15], v[74:75]
	v_fma_f64 v[74:75], v[203:204], s[14:15], -v[74:75]
	s_delay_alu instid0(VALU_DEP_4) | instskip(SKIP_1) | instid1(VALU_DEP_4)
	v_add_f64_e32 v[150:151], v[62:63], v[0:1]
	v_add_f64_e32 v[0:1], v[157:158], v[66:67]
	;; [unrolled: 1-line block ×3, first 2 shown]
	s_delay_alu instid0(VALU_DEP_4) | instskip(SKIP_1) | instid1(VALU_DEP_4)
	v_add_f64_e32 v[148:149], v[74:75], v[2:3]
	v_add_f64_e32 v[2:3], v[159:160], v[72:73]
	;; [unrolled: 1-line block ×3, first 2 shown]
	s_delay_alu instid0(VALU_DEP_2) | instskip(NEXT) | instid1(VALU_DEP_2)
	v_add_f64_e32 v[2:3], v[2:3], v[82:83]
	v_add_f64_e32 v[0:1], v[0:1], v[86:87]
	s_delay_alu instid0(VALU_DEP_2) | instskip(NEXT) | instid1(VALU_DEP_2)
	v_add_f64_e32 v[2:3], v[2:3], v[88:89]
	v_add_f64_e32 v[0:1], v[0:1], v[56:57]
	v_fma_f64 v[56:57], v[203:204], s[12:13], -v[197:198]
	s_delay_alu instid0(VALU_DEP_3) | instskip(NEXT) | instid1(VALU_DEP_3)
	v_add_f64_e32 v[2:3], v[2:3], v[44:45]
	v_add_f64_e32 v[0:1], v[0:1], v[58:59]
	s_delay_alu instid0(VALU_DEP_2) | instskip(NEXT) | instid1(VALU_DEP_2)
	v_add_f64_e32 v[2:3], v[2:3], v[46:47]
	v_add_f64_e32 v[0:1], v[0:1], v[80:81]
	s_delay_alu instid0(VALU_DEP_2) | instskip(NEXT) | instid1(VALU_DEP_2)
	v_add_f64_e32 v[2:3], v[2:3], v[84:85]
	v_add_f64_e32 v[0:1], v[0:1], v[54:55]
	v_fma_f64 v[54:55], v[195:196], s[10:11], -v[173:174]
	s_delay_alu instid0(VALU_DEP_3) | instskip(NEXT) | instid1(VALU_DEP_3)
	v_add_f64_e32 v[2:3], v[2:3], v[52:53]
	v_add_f64_e32 v[0:1], v[0:1], v[64:65]
	v_fma_f64 v[52:53], v[193:194], s[10:11], v[171:172]
	s_delay_alu instid0(VALU_DEP_3) | instskip(NEXT) | instid1(VALU_DEP_3)
	v_add_f64_e32 v[2:3], v[2:3], v[48:49]
	v_add_f64_e32 v[46:47], v[0:1], v[60:61]
	v_fma_f64 v[0:1], v[185:186], s[8:9], v[154:155]
	v_fma_f64 v[48:49], v[167:168], s[2:3], v[163:164]
	s_delay_alu instid0(VALU_DEP_4) | instskip(SKIP_3) | instid1(VALU_DEP_3)
	v_add_f64_e32 v[44:45], v[2:3], v[50:51]
	v_fma_f64 v[2:3], v[187:188], s[8:9], -v[161:162]
	v_fma_f64 v[50:51], v[189:190], s[2:3], -v[169:170]
	v_add_f64_e32 v[0:1], v[0:1], v[179:180]
	v_add_f64_e32 v[2:3], v[2:3], v[165:166]
	s_delay_alu instid0(VALU_DEP_2) | instskip(SKIP_1) | instid1(VALU_DEP_3)
	v_add_f64_e32 v[0:1], v[48:49], v[0:1]
	v_fma_f64 v[48:49], v[199:200], s[12:13], v[191:192]
	v_add_f64_e32 v[2:3], v[50:51], v[2:3]
	s_delay_alu instid0(VALU_DEP_3) | instskip(NEXT) | instid1(VALU_DEP_2)
	v_add_f64_e32 v[0:1], v[52:53], v[0:1]
	v_add_f64_e32 v[2:3], v[54:55], v[2:3]
	s_delay_alu instid0(VALU_DEP_2) | instskip(SKIP_1) | instid1(VALU_DEP_1)
	v_add_f64_e32 v[50:51], v[48:49], v[0:1]
	v_mul_u32_u24_e32 v0, 0x160, v5
	v_or_b32_e32 v0, v0, v4
	s_delay_alu instid0(VALU_DEP_1)
	v_lshlrev_b32_e32 v0, 4, v0
	v_add_f64_e32 v[48:49], v[56:57], v[2:3]
	ds_store_b128 v0, v[128:131] offset:2048
	ds_store_b128 v0, v[68:71] offset:2560
	;; [unrolled: 1-line block ×9, first 2 shown]
	ds_store_b128 v0, v[44:47]
	ds_store_b128 v0, v[48:51] offset:5120
.LBB0_9:
	s_wait_alu 0xfffe
	s_or_b32 exec_lo, exec_lo, s30
	global_wb scope:SCOPE_SE
	s_wait_dscnt 0x0
	s_barrier_signal -1
	s_barrier_wait -1
	global_inv scope:SCOPE_SE
	ds_load_b128 v[40:43], v208 offset:5632
	ds_load_b128 v[44:47], v208 offset:11264
	;; [unrolled: 1-line block ×8, first 2 shown]
	s_mov_b32 s2, 0x134454ff
	s_mov_b32 s3, 0xbfee6f0e
	;; [unrolled: 1-line block ×3, first 2 shown]
	s_wait_alu 0xfffe
	s_mov_b32 s8, s2
	s_wait_dscnt 0x7
	v_mul_f64_e32 v[0:1], v[98:99], v[42:43]
	s_wait_dscnt 0x6
	v_mul_f64_e32 v[72:73], v[102:103], v[46:47]
	v_mul_f64_e32 v[74:75], v[102:103], v[44:45]
	s_wait_dscnt 0x5
	v_mul_f64_e32 v[76:77], v[110:111], v[50:51]
	;; [unrolled: 3-line block ×3, first 2 shown]
	s_wait_dscnt 0x2
	v_mul_f64_e32 v[86:87], v[118:119], v[62:63]
	v_mul_f64_e32 v[88:89], v[118:119], v[60:61]
	s_wait_dscnt 0x1
	v_mul_f64_e32 v[90:91], v[126:127], v[66:67]
	v_mul_f64_e32 v[94:95], v[126:127], v[64:65]
	;; [unrolled: 1-line block ×5, first 2 shown]
	s_wait_dscnt 0x0
	v_mul_f64_e32 v[92:93], v[122:123], v[70:71]
	v_mul_f64_e32 v[98:99], v[114:115], v[56:57]
	;; [unrolled: 1-line block ×3, first 2 shown]
	v_fma_f64 v[0:1], v[96:97], v[40:41], v[0:1]
	v_fma_f64 v[72:73], v[100:101], v[44:45], v[72:73]
	v_fma_f64 v[74:75], v[100:101], v[46:47], -v[74:75]
	v_fma_f64 v[48:49], v[108:109], v[48:49], v[76:77]
	v_fma_f64 v[50:51], v[108:109], v[50:51], -v[78:79]
	v_fma_f64 v[52:53], v[104:105], v[52:53], v[80:81]
	v_fma_f64 v[60:61], v[116:117], v[60:61], v[86:87]
	v_fma_f64 v[62:63], v[116:117], v[62:63], -v[88:89]
	v_fma_f64 v[64:65], v[124:125], v[64:65], v[90:91]
	v_fma_f64 v[66:67], v[124:125], v[66:67], -v[94:95]
	v_fma_f64 v[2:3], v[96:97], v[42:43], -v[2:3]
	;; [unrolled: 1-line block ×3, first 2 shown]
	v_fma_f64 v[56:57], v[112:113], v[56:57], v[84:85]
	v_fma_f64 v[68:69], v[120:121], v[68:69], v[92:93]
	v_fma_f64 v[58:59], v[112:113], v[58:59], -v[98:99]
	v_fma_f64 v[70:71], v[120:121], v[70:71], -v[102:103]
	ds_load_b128 v[40:43], v208
	ds_load_b128 v[44:47], v208 offset:2816
	s_wait_dscnt 0x1
	v_add_f64_e32 v[92:93], v[40:41], v[0:1]
	v_add_f64_e32 v[76:77], v[72:73], v[48:49]
	;; [unrolled: 1-line block ×4, first 2 shown]
	v_add_f64_e64 v[100:101], v[0:1], -v[52:53]
	v_add_f64_e64 v[96:97], v[74:75], -v[50:51]
	v_add_f64_e32 v[84:85], v[60:61], v[64:65]
	v_add_f64_e32 v[88:89], v[62:63], v[66:67]
	;; [unrolled: 1-line block ×4, first 2 shown]
	s_wait_dscnt 0x0
	v_add_f64_e32 v[104:105], v[44:45], v[56:57]
	v_add_f64_e32 v[86:87], v[56:57], v[68:69]
	;; [unrolled: 1-line block ×4, first 2 shown]
	v_add_f64_e64 v[94:95], v[2:3], -v[54:55]
	v_add_f64_e64 v[108:109], v[58:59], -v[70:71]
	;; [unrolled: 1-line block ×17, first 2 shown]
	v_fma_f64 v[76:77], v[76:77], -0.5, v[40:41]
	v_fma_f64 v[80:81], v[80:81], -0.5, v[42:43]
	;; [unrolled: 1-line block ×3, first 2 shown]
	v_add_f64_e64 v[78:79], v[62:63], -v[66:67]
	v_fma_f64 v[84:85], v[84:85], -0.5, v[44:45]
	v_fma_f64 v[88:89], v[88:89], -0.5, v[46:47]
	v_add_f64_e32 v[74:75], v[98:99], v[74:75]
	v_fma_f64 v[42:43], v[82:83], -0.5, v[42:43]
	v_add_f64_e64 v[82:83], v[60:61], -v[64:65]
	v_fma_f64 v[44:45], v[86:87], -0.5, v[44:45]
	v_add_f64_e64 v[86:87], v[0:1], -v[72:73]
	;; [unrolled: 2-line block ×3, first 2 shown]
	v_add_f64_e32 v[72:73], v[92:93], v[72:73]
	v_add_f64_e64 v[90:91], v[52:53], -v[48:49]
	v_add_f64_e32 v[60:61], v[104:105], v[60:61]
	v_add_f64_e32 v[62:63], v[106:107], v[62:63]
	;; [unrolled: 1-line block ×4, first 2 shown]
	v_fma_f64 v[92:93], v[94:95], s[2:3], v[76:77]
	s_wait_alu 0xfffe
	v_fma_f64 v[104:105], v[100:101], s[8:9], v[80:81]
	v_fma_f64 v[98:99], v[96:97], s[8:9], v[40:41]
	;; [unrolled: 1-line block ×15, first 2 shown]
	s_mov_b32 s2, 0x4755a5e
	s_mov_b32 s3, 0xbfe2cf23
	;; [unrolled: 1-line block ×3, first 2 shown]
	s_wait_alu 0xfffe
	s_mov_b32 s8, s2
	v_add_f64_e32 v[48:49], v[72:73], v[48:49]
	v_add_f64_e32 v[50:51], v[74:75], v[50:51]
	;; [unrolled: 1-line block ×10, first 2 shown]
	v_fma_f64 v[60:61], v[96:97], s[2:3], v[92:93]
	s_wait_alu 0xfffe
	v_fma_f64 v[72:73], v[102:103], s[8:9], v[104:105]
	v_fma_f64 v[64:65], v[94:95], s[2:3], v[98:99]
	;; [unrolled: 1-line block ×15, first 2 shown]
	s_mov_b32 s2, 0x372fe950
	s_mov_b32 s3, 0x3fd3c6ef
	v_add_f64_e32 v[40:41], v[48:49], v[52:53]
	v_add_f64_e32 v[42:43], v[50:51], v[54:55]
	v_add_f64_e32 v[44:45], v[56:57], v[68:69]
	v_add_f64_e32 v[46:47], v[58:59], v[70:71]
	s_wait_alu 0xfffe
	v_fma_f64 v[48:49], v[86:87], s[2:3], v[60:61]
	v_fma_f64 v[50:51], v[90:91], s[2:3], v[72:73]
	;; [unrolled: 1-line block ×16, first 2 shown]
	v_mad_co_u64_u32 v[0:1], null, s6, v7, 0
	v_mad_co_u64_u32 v[2:3], null, s4, v16, 0
	s_mul_u64 s[2:3], s[4:5], 0x3700
	ds_store_b128 v208, v[40:43]
	ds_store_b128 v208, v[44:47] offset:2816
	ds_store_b128 v208, v[48:51] offset:5632
	;; [unrolled: 1-line block ×9, first 2 shown]
	global_wb scope:SCOPE_SE
	s_wait_dscnt 0x0
	s_barrier_signal -1
	s_barrier_wait -1
	global_inv scope:SCOPE_SE
	ds_load_b128 v[40:43], v208
	ds_load_b128 v[44:47], v208 offset:14080
	ds_load_b128 v[48:51], v208 offset:2816
	;; [unrolled: 1-line block ×9, first 2 shown]
	s_clause 0x1
	scratch_load_b128 v[32:35], off, off th:TH_LOAD_LU
	scratch_load_b128 v[36:39], off, off offset:16 th:TH_LOAD_LU
	v_mad_co_u64_u32 v[80:81], null, s7, v7, v[1:2]
	v_mad_co_u64_u32 v[103:104], null, s5, v16, v[3:4]
	s_delay_alu instid0(VALU_DEP_2) | instskip(NEXT) | instid1(VALU_DEP_2)
	v_mov_b32_e32 v1, v80
	v_mov_b32_e32 v3, v103
	s_wait_dscnt 0x5
	v_mul_f64_e32 v[91:92], v[231:232], v[58:59]
	v_mul_f64_e32 v[22:23], v[231:232], v[56:57]
	;; [unrolled: 1-line block ×10, first 2 shown]
	s_wait_dscnt 0x4
	v_mul_f64_e32 v[93:94], v[227:228], v[62:63]
	v_mul_f64_e32 v[18:19], v[227:228], v[60:61]
	s_wait_dscnt 0x3
	v_mul_f64_e32 v[95:96], v[247:248], v[66:67]
	v_mul_f64_e32 v[26:27], v[247:248], v[64:65]
	;; [unrolled: 3-line block ×3, first 2 shown]
	v_lshlrev_b64_e32 v[0:1], 4, v[0:1]
	v_lshlrev_b64_e32 v[2:3], 4, v[2:3]
	s_delay_alu instid0(VALU_DEP_2) | instskip(SKIP_1) | instid1(VALU_DEP_3)
	v_add_co_u32 v80, vcc_lo, s0, v0
	s_wait_alu 0xfffd
	v_add_co_ci_u32_e32 v103, vcc_lo, s1, v1, vcc_lo
	s_movk_i32 s0, 0xd400
	s_mov_b32 s1, -1
	s_wait_alu 0xfffe
	s_mul_u64 s[0:1], s[4:5], s[0:1]
	s_mov_b32 s4, 0x29e4129e
	s_mov_b32 s5, 0x3f429e41
	v_fma_f64 v[20:21], v[229:230], v[58:59], -v[22:23]
	v_fma_f64 v[0:1], v[213:214], v[40:41], v[81:82]
	v_fma_f64 v[4:5], v[213:214], v[42:43], -v[6:7]
	v_fma_f64 v[6:7], v[209:210], v[44:45], v[83:84]
	;; [unrolled: 2-line block ×5, first 2 shown]
	v_fma_f64 v[22:23], v[225:226], v[60:61], v[93:94]
	v_fma_f64 v[48:49], v[225:226], v[62:63], -v[18:19]
	v_fma_f64 v[50:51], v[245:246], v[64:65], v[95:96]
	v_fma_f64 v[26:27], v[245:246], v[66:67], -v[26:27]
	;; [unrolled: 2-line block ×3, first 2 shown]
	v_add_co_u32 v58, vcc_lo, v80, v2
	s_wait_alu 0xfffd
	v_add_co_ci_u32_e32 v59, vcc_lo, v103, v3, vcc_lo
	s_delay_alu instid0(VALU_DEP_2) | instskip(SKIP_1) | instid1(VALU_DEP_2)
	v_add_co_u32 v60, vcc_lo, v58, s2
	s_wait_alu 0xfffd
	v_add_co_ci_u32_e32 v61, vcc_lo, s3, v59, vcc_lo
	s_wait_alu 0xfffe
	s_delay_alu instid0(VALU_DEP_2) | instskip(SKIP_1) | instid1(VALU_DEP_2)
	v_add_co_u32 v62, vcc_lo, v60, s0
	s_wait_alu 0xfffd
	v_add_co_ci_u32_e32 v63, vcc_lo, s1, v61, vcc_lo
	s_delay_alu instid0(VALU_DEP_2) | instskip(SKIP_1) | instid1(VALU_DEP_2)
	v_add_co_u32 v64, vcc_lo, v62, s2
	s_wait_alu 0xfffd
	v_add_co_ci_u32_e32 v65, vcc_lo, s3, v63, vcc_lo
	v_mul_f64_e32 v[18:19], s[4:5], v[20:21]
	v_mul_f64_e32 v[0:1], s[4:5], v[0:1]
	;; [unrolled: 1-line block ×16, first 2 shown]
	v_add_co_u32 v40, vcc_lo, v64, s0
	s_wait_alu 0xfffd
	v_add_co_ci_u32_e32 v41, vcc_lo, s1, v65, vcc_lo
	s_delay_alu instid0(VALU_DEP_2) | instskip(SKIP_1) | instid1(VALU_DEP_2)
	v_add_co_u32 v42, vcc_lo, v40, s2
	s_wait_alu 0xfffd
	v_add_co_ci_u32_e32 v43, vcc_lo, s3, v41, vcc_lo
	s_delay_alu instid0(VALU_DEP_2) | instskip(SKIP_1) | instid1(VALU_DEP_2)
	;; [unrolled: 4-line block ×5, first 2 shown]
	v_add_co_u32 v50, vcc_lo, v48, s2
	s_wait_alu 0xfffd
	v_add_co_ci_u32_e32 v51, vcc_lo, s3, v49, vcc_lo
	s_wait_loadcnt_dscnt 0x101
	v_mul_f64_e32 v[99:100], v[34:35], v[74:75]
	v_mul_f64_e32 v[34:35], v[34:35], v[72:73]
	s_wait_loadcnt_dscnt 0x0
	v_mul_f64_e32 v[101:102], v[38:39], v[78:79]
	v_mul_f64_e32 v[38:39], v[38:39], v[76:77]
	s_delay_alu instid0(VALU_DEP_4) | instskip(NEXT) | instid1(VALU_DEP_4)
	v_fma_f64 v[54:55], v[32:33], v[72:73], v[99:100]
	v_fma_f64 v[34:35], v[32:33], v[74:75], -v[34:35]
	s_delay_alu instid0(VALU_DEP_4) | instskip(NEXT) | instid1(VALU_DEP_4)
	v_fma_f64 v[56:57], v[36:37], v[76:77], v[101:102]
	v_fma_f64 v[38:39], v[36:37], v[78:79], -v[38:39]
	s_delay_alu instid0(VALU_DEP_4) | instskip(NEXT) | instid1(VALU_DEP_4)
	v_mul_f64_e32 v[32:33], s[4:5], v[54:55]
	v_mul_f64_e32 v[34:35], s[4:5], v[34:35]
	s_delay_alu instid0(VALU_DEP_4) | instskip(NEXT) | instid1(VALU_DEP_4)
	v_mul_f64_e32 v[36:37], s[4:5], v[56:57]
	v_mul_f64_e32 v[38:39], s[4:5], v[38:39]
	s_clause 0x4
	global_store_b128 v[58:59], v[0:3], off
	global_store_b128 v[60:61], v[4:7], off
	;; [unrolled: 1-line block ×10, first 2 shown]
.LBB0_10:
	s_nop 0
	s_sendmsg sendmsg(MSG_DEALLOC_VGPRS)
	s_endpgm
	.section	.rodata,"a",@progbits
	.p2align	6, 0x0
	.amdhsa_kernel bluestein_single_fwd_len1760_dim1_dp_op_CI_CI
		.amdhsa_group_segment_fixed_size 28160
		.amdhsa_private_segment_fixed_size 120
		.amdhsa_kernarg_size 104
		.amdhsa_user_sgpr_count 2
		.amdhsa_user_sgpr_dispatch_ptr 0
		.amdhsa_user_sgpr_queue_ptr 0
		.amdhsa_user_sgpr_kernarg_segment_ptr 1
		.amdhsa_user_sgpr_dispatch_id 0
		.amdhsa_user_sgpr_private_segment_size 0
		.amdhsa_wavefront_size32 1
		.amdhsa_uses_dynamic_stack 0
		.amdhsa_enable_private_segment 1
		.amdhsa_system_sgpr_workgroup_id_x 1
		.amdhsa_system_sgpr_workgroup_id_y 0
		.amdhsa_system_sgpr_workgroup_id_z 0
		.amdhsa_system_sgpr_workgroup_info 0
		.amdhsa_system_vgpr_workitem_id 0
		.amdhsa_next_free_vgpr 256
		.amdhsa_next_free_sgpr 42
		.amdhsa_reserve_vcc 1
		.amdhsa_float_round_mode_32 0
		.amdhsa_float_round_mode_16_64 0
		.amdhsa_float_denorm_mode_32 3
		.amdhsa_float_denorm_mode_16_64 3
		.amdhsa_fp16_overflow 0
		.amdhsa_workgroup_processor_mode 1
		.amdhsa_memory_ordered 1
		.amdhsa_forward_progress 0
		.amdhsa_round_robin_scheduling 0
		.amdhsa_exception_fp_ieee_invalid_op 0
		.amdhsa_exception_fp_denorm_src 0
		.amdhsa_exception_fp_ieee_div_zero 0
		.amdhsa_exception_fp_ieee_overflow 0
		.amdhsa_exception_fp_ieee_underflow 0
		.amdhsa_exception_fp_ieee_inexact 0
		.amdhsa_exception_int_div_zero 0
	.end_amdhsa_kernel
	.text
.Lfunc_end0:
	.size	bluestein_single_fwd_len1760_dim1_dp_op_CI_CI, .Lfunc_end0-bluestein_single_fwd_len1760_dim1_dp_op_CI_CI
                                        ; -- End function
	.section	.AMDGPU.csdata,"",@progbits
; Kernel info:
; codeLenInByte = 17232
; NumSgprs: 44
; NumVgprs: 256
; ScratchSize: 120
; MemoryBound: 0
; FloatMode: 240
; IeeeMode: 1
; LDSByteSize: 28160 bytes/workgroup (compile time only)
; SGPRBlocks: 5
; VGPRBlocks: 31
; NumSGPRsForWavesPerEU: 44
; NumVGPRsForWavesPerEU: 256
; Occupancy: 5
; WaveLimiterHint : 1
; COMPUTE_PGM_RSRC2:SCRATCH_EN: 1
; COMPUTE_PGM_RSRC2:USER_SGPR: 2
; COMPUTE_PGM_RSRC2:TRAP_HANDLER: 0
; COMPUTE_PGM_RSRC2:TGID_X_EN: 1
; COMPUTE_PGM_RSRC2:TGID_Y_EN: 0
; COMPUTE_PGM_RSRC2:TGID_Z_EN: 0
; COMPUTE_PGM_RSRC2:TIDIG_COMP_CNT: 0
	.text
	.p2alignl 7, 3214868480
	.fill 96, 4, 3214868480
	.type	__hip_cuid_b30e50cc96b829ae,@object ; @__hip_cuid_b30e50cc96b829ae
	.section	.bss,"aw",@nobits
	.globl	__hip_cuid_b30e50cc96b829ae
__hip_cuid_b30e50cc96b829ae:
	.byte	0                               ; 0x0
	.size	__hip_cuid_b30e50cc96b829ae, 1

	.ident	"AMD clang version 19.0.0git (https://github.com/RadeonOpenCompute/llvm-project roc-6.4.0 25133 c7fe45cf4b819c5991fe208aaa96edf142730f1d)"
	.section	".note.GNU-stack","",@progbits
	.addrsig
	.addrsig_sym __hip_cuid_b30e50cc96b829ae
	.amdgpu_metadata
---
amdhsa.kernels:
  - .args:
      - .actual_access:  read_only
        .address_space:  global
        .offset:         0
        .size:           8
        .value_kind:     global_buffer
      - .actual_access:  read_only
        .address_space:  global
        .offset:         8
        .size:           8
        .value_kind:     global_buffer
      - .actual_access:  read_only
        .address_space:  global
        .offset:         16
        .size:           8
        .value_kind:     global_buffer
      - .actual_access:  read_only
        .address_space:  global
        .offset:         24
        .size:           8
        .value_kind:     global_buffer
      - .actual_access:  read_only
        .address_space:  global
        .offset:         32
        .size:           8
        .value_kind:     global_buffer
      - .offset:         40
        .size:           8
        .value_kind:     by_value
      - .address_space:  global
        .offset:         48
        .size:           8
        .value_kind:     global_buffer
      - .address_space:  global
        .offset:         56
        .size:           8
        .value_kind:     global_buffer
      - .address_space:  global
        .offset:         64
        .size:           8
        .value_kind:     global_buffer
      - .address_space:  global
        .offset:         72
        .size:           8
        .value_kind:     global_buffer
      - .offset:         80
        .size:           4
        .value_kind:     by_value
      - .address_space:  global
        .offset:         88
        .size:           8
        .value_kind:     global_buffer
      - .address_space:  global
        .offset:         96
        .size:           8
        .value_kind:     global_buffer
    .group_segment_fixed_size: 28160
    .kernarg_segment_align: 8
    .kernarg_segment_size: 104
    .language:       OpenCL C
    .language_version:
      - 2
      - 0
    .max_flat_workgroup_size: 176
    .name:           bluestein_single_fwd_len1760_dim1_dp_op_CI_CI
    .private_segment_fixed_size: 120
    .sgpr_count:     44
    .sgpr_spill_count: 0
    .symbol:         bluestein_single_fwd_len1760_dim1_dp_op_CI_CI.kd
    .uniform_work_group_size: 1
    .uses_dynamic_stack: false
    .vgpr_count:     256
    .vgpr_spill_count: 29
    .wavefront_size: 32
    .workgroup_processor_mode: 1
amdhsa.target:   amdgcn-amd-amdhsa--gfx1201
amdhsa.version:
  - 1
  - 2
...

	.end_amdgpu_metadata
